;; amdgpu-corpus repo=ROCm/rocFFT kind=compiled arch=gfx1201 opt=O3
	.text
	.amdgcn_target "amdgcn-amd-amdhsa--gfx1201"
	.amdhsa_code_object_version 6
	.protected	fft_rtc_fwd_len3840_factors_10_6_2_2_2_2_2_2_wgs_128_tpt_128_halfLds_half_ip_CI_unitstride_sbrr_R2C_dirReg ; -- Begin function fft_rtc_fwd_len3840_factors_10_6_2_2_2_2_2_2_wgs_128_tpt_128_halfLds_half_ip_CI_unitstride_sbrr_R2C_dirReg
	.globl	fft_rtc_fwd_len3840_factors_10_6_2_2_2_2_2_2_wgs_128_tpt_128_halfLds_half_ip_CI_unitstride_sbrr_R2C_dirReg
	.p2align	8
	.type	fft_rtc_fwd_len3840_factors_10_6_2_2_2_2_2_2_wgs_128_tpt_128_halfLds_half_ip_CI_unitstride_sbrr_R2C_dirReg,@function
fft_rtc_fwd_len3840_factors_10_6_2_2_2_2_2_2_wgs_128_tpt_128_halfLds_half_ip_CI_unitstride_sbrr_R2C_dirReg: ; @fft_rtc_fwd_len3840_factors_10_6_2_2_2_2_2_2_wgs_128_tpt_128_halfLds_half_ip_CI_unitstride_sbrr_R2C_dirReg
; %bb.0:
	s_clause 0x2
	s_load_b128 s[4:7], s[0:1], 0x0
	s_load_b64 s[8:9], s[0:1], 0x50
	s_load_b64 s[10:11], s[0:1], 0x18
	v_mov_b32_e32 v3, 0
	v_mov_b32_e32 v1, 0
	v_dual_mov_b32 v2, 0 :: v_dual_mov_b32 v5, ttmp9
	s_mov_b32 s3, 0
	s_delay_alu instid0(VALU_DEP_3) | instskip(SKIP_2) | instid1(VALU_DEP_1)
	v_mov_b32_e32 v6, v3
	s_wait_kmcnt 0x0
	v_cmp_lt_u64_e64 s2, s[6:7], 2
	s_and_b32 vcc_lo, exec_lo, s2
	s_cbranch_vccnz .LBB0_8
; %bb.1:
	s_load_b64 s[14:15], s[0:1], 0x10
	v_mov_b32_e32 v1, 0
	v_mov_b32_e32 v2, 0
	s_add_nc_u64 s[12:13], s[10:11], 8
	s_mov_b64 s[16:17], 1
	s_wait_kmcnt 0x0
	s_add_nc_u64 s[14:15], s[14:15], 8
.LBB0_2:                                ; =>This Inner Loop Header: Depth=1
	s_load_b64 s[18:19], s[14:15], 0x0
                                        ; implicit-def: $vgpr7_vgpr8
	s_mov_b32 s2, exec_lo
	s_wait_kmcnt 0x0
	v_or_b32_e32 v4, s19, v6
	s_delay_alu instid0(VALU_DEP_1)
	v_cmpx_ne_u64_e32 0, v[3:4]
	s_wait_alu 0xfffe
	s_xor_b32 s20, exec_lo, s2
	s_cbranch_execz .LBB0_4
; %bb.3:                                ;   in Loop: Header=BB0_2 Depth=1
	s_cvt_f32_u32 s2, s18
	s_cvt_f32_u32 s21, s19
	s_sub_nc_u64 s[24:25], 0, s[18:19]
	s_wait_alu 0xfffe
	s_delay_alu instid0(SALU_CYCLE_1) | instskip(SKIP_1) | instid1(SALU_CYCLE_2)
	s_fmamk_f32 s2, s21, 0x4f800000, s2
	s_wait_alu 0xfffe
	v_s_rcp_f32 s2, s2
	s_delay_alu instid0(TRANS32_DEP_1) | instskip(SKIP_1) | instid1(SALU_CYCLE_2)
	s_mul_f32 s2, s2, 0x5f7ffffc
	s_wait_alu 0xfffe
	s_mul_f32 s21, s2, 0x2f800000
	s_wait_alu 0xfffe
	s_delay_alu instid0(SALU_CYCLE_2) | instskip(SKIP_1) | instid1(SALU_CYCLE_2)
	s_trunc_f32 s21, s21
	s_wait_alu 0xfffe
	s_fmamk_f32 s2, s21, 0xcf800000, s2
	s_cvt_u32_f32 s23, s21
	s_wait_alu 0xfffe
	s_delay_alu instid0(SALU_CYCLE_1) | instskip(SKIP_1) | instid1(SALU_CYCLE_2)
	s_cvt_u32_f32 s22, s2
	s_wait_alu 0xfffe
	s_mul_u64 s[26:27], s[24:25], s[22:23]
	s_wait_alu 0xfffe
	s_mul_hi_u32 s29, s22, s27
	s_mul_i32 s28, s22, s27
	s_mul_hi_u32 s2, s22, s26
	s_mul_i32 s30, s23, s26
	s_wait_alu 0xfffe
	s_add_nc_u64 s[28:29], s[2:3], s[28:29]
	s_mul_hi_u32 s21, s23, s26
	s_mul_hi_u32 s31, s23, s27
	s_add_co_u32 s2, s28, s30
	s_wait_alu 0xfffe
	s_add_co_ci_u32 s2, s29, s21
	s_mul_i32 s26, s23, s27
	s_add_co_ci_u32 s27, s31, 0
	s_wait_alu 0xfffe
	s_add_nc_u64 s[26:27], s[2:3], s[26:27]
	s_wait_alu 0xfffe
	v_add_co_u32 v4, s2, s22, s26
	s_delay_alu instid0(VALU_DEP_1) | instskip(SKIP_1) | instid1(VALU_DEP_1)
	s_cmp_lg_u32 s2, 0
	s_add_co_ci_u32 s23, s23, s27
	v_readfirstlane_b32 s22, v4
	s_wait_alu 0xfffe
	s_delay_alu instid0(VALU_DEP_1)
	s_mul_u64 s[24:25], s[24:25], s[22:23]
	s_wait_alu 0xfffe
	s_mul_hi_u32 s27, s22, s25
	s_mul_i32 s26, s22, s25
	s_mul_hi_u32 s2, s22, s24
	s_mul_i32 s28, s23, s24
	s_wait_alu 0xfffe
	s_add_nc_u64 s[26:27], s[2:3], s[26:27]
	s_mul_hi_u32 s21, s23, s24
	s_mul_hi_u32 s22, s23, s25
	s_wait_alu 0xfffe
	s_add_co_u32 s2, s26, s28
	s_add_co_ci_u32 s2, s27, s21
	s_mul_i32 s24, s23, s25
	s_add_co_ci_u32 s25, s22, 0
	s_wait_alu 0xfffe
	s_add_nc_u64 s[24:25], s[2:3], s[24:25]
	s_wait_alu 0xfffe
	v_add_co_u32 v4, s2, v4, s24
	s_delay_alu instid0(VALU_DEP_1) | instskip(SKIP_1) | instid1(VALU_DEP_1)
	s_cmp_lg_u32 s2, 0
	s_add_co_ci_u32 s2, s23, s25
	v_mul_hi_u32 v13, v5, v4
	s_wait_alu 0xfffe
	v_mad_co_u64_u32 v[7:8], null, v5, s2, 0
	v_mad_co_u64_u32 v[9:10], null, v6, v4, 0
	;; [unrolled: 1-line block ×3, first 2 shown]
	s_delay_alu instid0(VALU_DEP_3) | instskip(SKIP_1) | instid1(VALU_DEP_4)
	v_add_co_u32 v4, vcc_lo, v13, v7
	s_wait_alu 0xfffd
	v_add_co_ci_u32_e32 v7, vcc_lo, 0, v8, vcc_lo
	s_delay_alu instid0(VALU_DEP_2) | instskip(SKIP_1) | instid1(VALU_DEP_2)
	v_add_co_u32 v4, vcc_lo, v4, v9
	s_wait_alu 0xfffd
	v_add_co_ci_u32_e32 v4, vcc_lo, v7, v10, vcc_lo
	s_wait_alu 0xfffd
	v_add_co_ci_u32_e32 v7, vcc_lo, 0, v12, vcc_lo
	s_delay_alu instid0(VALU_DEP_2) | instskip(SKIP_1) | instid1(VALU_DEP_2)
	v_add_co_u32 v4, vcc_lo, v4, v11
	s_wait_alu 0xfffd
	v_add_co_ci_u32_e32 v9, vcc_lo, 0, v7, vcc_lo
	s_delay_alu instid0(VALU_DEP_2) | instskip(SKIP_1) | instid1(VALU_DEP_3)
	v_mul_lo_u32 v10, s19, v4
	v_mad_co_u64_u32 v[7:8], null, s18, v4, 0
	v_mul_lo_u32 v11, s18, v9
	s_delay_alu instid0(VALU_DEP_2) | instskip(NEXT) | instid1(VALU_DEP_2)
	v_sub_co_u32 v7, vcc_lo, v5, v7
	v_add3_u32 v8, v8, v11, v10
	s_delay_alu instid0(VALU_DEP_1) | instskip(SKIP_1) | instid1(VALU_DEP_1)
	v_sub_nc_u32_e32 v10, v6, v8
	s_wait_alu 0xfffd
	v_subrev_co_ci_u32_e64 v10, s2, s19, v10, vcc_lo
	v_add_co_u32 v11, s2, v4, 2
	s_wait_alu 0xf1ff
	v_add_co_ci_u32_e64 v12, s2, 0, v9, s2
	v_sub_co_u32 v13, s2, v7, s18
	v_sub_co_ci_u32_e32 v8, vcc_lo, v6, v8, vcc_lo
	s_wait_alu 0xf1ff
	v_subrev_co_ci_u32_e64 v10, s2, 0, v10, s2
	s_delay_alu instid0(VALU_DEP_3) | instskip(NEXT) | instid1(VALU_DEP_3)
	v_cmp_le_u32_e32 vcc_lo, s18, v13
	v_cmp_eq_u32_e64 s2, s19, v8
	s_wait_alu 0xfffd
	v_cndmask_b32_e64 v13, 0, -1, vcc_lo
	v_cmp_le_u32_e32 vcc_lo, s19, v10
	s_wait_alu 0xfffd
	v_cndmask_b32_e64 v14, 0, -1, vcc_lo
	v_cmp_le_u32_e32 vcc_lo, s18, v7
	;; [unrolled: 3-line block ×3, first 2 shown]
	s_wait_alu 0xfffd
	v_cndmask_b32_e64 v15, 0, -1, vcc_lo
	v_cmp_eq_u32_e32 vcc_lo, s19, v10
	s_wait_alu 0xf1ff
	s_delay_alu instid0(VALU_DEP_2)
	v_cndmask_b32_e64 v7, v15, v7, s2
	s_wait_alu 0xfffd
	v_cndmask_b32_e32 v10, v14, v13, vcc_lo
	v_add_co_u32 v13, vcc_lo, v4, 1
	s_wait_alu 0xfffd
	v_add_co_ci_u32_e32 v14, vcc_lo, 0, v9, vcc_lo
	s_delay_alu instid0(VALU_DEP_3) | instskip(SKIP_2) | instid1(VALU_DEP_3)
	v_cmp_ne_u32_e32 vcc_lo, 0, v10
	s_wait_alu 0xfffd
	v_cndmask_b32_e32 v10, v13, v11, vcc_lo
	v_cndmask_b32_e32 v8, v14, v12, vcc_lo
	v_cmp_ne_u32_e32 vcc_lo, 0, v7
	s_wait_alu 0xfffd
	s_delay_alu instid0(VALU_DEP_2)
	v_dual_cndmask_b32 v7, v4, v10 :: v_dual_cndmask_b32 v8, v9, v8
.LBB0_4:                                ;   in Loop: Header=BB0_2 Depth=1
	s_wait_alu 0xfffe
	s_and_not1_saveexec_b32 s2, s20
	s_cbranch_execz .LBB0_6
; %bb.5:                                ;   in Loop: Header=BB0_2 Depth=1
	v_cvt_f32_u32_e32 v4, s18
	s_sub_co_i32 s20, 0, s18
	s_delay_alu instid0(VALU_DEP_1) | instskip(NEXT) | instid1(TRANS32_DEP_1)
	v_rcp_iflag_f32_e32 v4, v4
	v_mul_f32_e32 v4, 0x4f7ffffe, v4
	s_delay_alu instid0(VALU_DEP_1) | instskip(SKIP_1) | instid1(VALU_DEP_1)
	v_cvt_u32_f32_e32 v4, v4
	s_wait_alu 0xfffe
	v_mul_lo_u32 v7, s20, v4
	s_delay_alu instid0(VALU_DEP_1) | instskip(NEXT) | instid1(VALU_DEP_1)
	v_mul_hi_u32 v7, v4, v7
	v_add_nc_u32_e32 v4, v4, v7
	s_delay_alu instid0(VALU_DEP_1) | instskip(NEXT) | instid1(VALU_DEP_1)
	v_mul_hi_u32 v4, v5, v4
	v_mul_lo_u32 v7, v4, s18
	v_add_nc_u32_e32 v8, 1, v4
	s_delay_alu instid0(VALU_DEP_2) | instskip(NEXT) | instid1(VALU_DEP_1)
	v_sub_nc_u32_e32 v7, v5, v7
	v_subrev_nc_u32_e32 v9, s18, v7
	v_cmp_le_u32_e32 vcc_lo, s18, v7
	s_wait_alu 0xfffd
	s_delay_alu instid0(VALU_DEP_2) | instskip(NEXT) | instid1(VALU_DEP_1)
	v_dual_cndmask_b32 v7, v7, v9 :: v_dual_cndmask_b32 v4, v4, v8
	v_cmp_le_u32_e32 vcc_lo, s18, v7
	s_delay_alu instid0(VALU_DEP_2) | instskip(SKIP_1) | instid1(VALU_DEP_1)
	v_add_nc_u32_e32 v8, 1, v4
	s_wait_alu 0xfffd
	v_dual_cndmask_b32 v7, v4, v8 :: v_dual_mov_b32 v8, v3
.LBB0_6:                                ;   in Loop: Header=BB0_2 Depth=1
	s_wait_alu 0xfffe
	s_or_b32 exec_lo, exec_lo, s2
	s_load_b64 s[20:21], s[12:13], 0x0
	s_delay_alu instid0(VALU_DEP_1)
	v_mul_lo_u32 v4, v8, s18
	v_mul_lo_u32 v11, v7, s19
	v_mad_co_u64_u32 v[9:10], null, v7, s18, 0
	s_add_nc_u64 s[16:17], s[16:17], 1
	s_add_nc_u64 s[12:13], s[12:13], 8
	s_wait_alu 0xfffe
	v_cmp_ge_u64_e64 s2, s[16:17], s[6:7]
	s_add_nc_u64 s[14:15], s[14:15], 8
	s_delay_alu instid0(VALU_DEP_2) | instskip(NEXT) | instid1(VALU_DEP_3)
	v_add3_u32 v4, v10, v11, v4
	v_sub_co_u32 v5, vcc_lo, v5, v9
	s_wait_alu 0xfffd
	s_delay_alu instid0(VALU_DEP_2) | instskip(SKIP_3) | instid1(VALU_DEP_2)
	v_sub_co_ci_u32_e32 v4, vcc_lo, v6, v4, vcc_lo
	s_and_b32 vcc_lo, exec_lo, s2
	s_wait_kmcnt 0x0
	v_mul_lo_u32 v6, s21, v5
	v_mul_lo_u32 v4, s20, v4
	v_mad_co_u64_u32 v[1:2], null, s20, v5, v[1:2]
	s_delay_alu instid0(VALU_DEP_1)
	v_add3_u32 v2, v6, v2, v4
	s_wait_alu 0xfffe
	s_cbranch_vccnz .LBB0_9
; %bb.7:                                ;   in Loop: Header=BB0_2 Depth=1
	v_dual_mov_b32 v5, v7 :: v_dual_mov_b32 v6, v8
	s_branch .LBB0_2
.LBB0_8:
	v_dual_mov_b32 v8, v6 :: v_dual_mov_b32 v7, v5
.LBB0_9:
	s_lshl_b64 s[2:3], s[6:7], 3
	v_or_b32_e32 v24, 0x80, v0
	s_wait_alu 0xfffe
	s_add_nc_u64 s[2:3], s[10:11], s[2:3]
	v_or_b32_e32 v26, 0x100, v0
	s_load_b64 s[2:3], s[2:3], 0x0
	s_load_b64 s[0:1], s[0:1], 0x20
	v_or_b32_e32 v46, 0x280, v0
	v_or_b32_e32 v34, 0x500, v0
	;; [unrolled: 1-line block ×12, first 2 shown]
	s_wait_kmcnt 0x0
	v_mul_lo_u32 v4, s2, v8
	v_mul_lo_u32 v5, s3, v7
	v_mad_co_u64_u32 v[2:3], null, s2, v7, v[1:2]
	v_cmp_gt_u64_e32 vcc_lo, s[0:1], v[7:8]
	v_cmp_le_u64_e64 s0, s[0:1], v[7:8]
	s_delay_alu instid0(VALU_DEP_3) | instskip(NEXT) | instid1(VALU_DEP_2)
	v_add3_u32 v3, v5, v3, v4
	s_and_saveexec_b32 s1, s0
	s_wait_alu 0xfffe
	s_xor_b32 s0, exec_lo, s1
	s_cbranch_execz .LBB0_11
; %bb.10:
	v_mov_b32_e32 v1, 0
	v_or_b32_e32 v24, 0x80, v0
	v_or_b32_e32 v26, 0x100, v0
	v_or_b32_e32 v46, 0x280, v0
	v_or_b32_e32 v34, 0x500, v0
	v_or_b32_e32 v50, 0x180, v0
	v_or_b32_e32 v48, 0x200, v0
	v_or_b32_e32 v44, 0x300, v0
	v_or_b32_e32 v42, 0x380, v0
	v_or_b32_e32 v40, 0x400, v0
	v_or_b32_e32 v38, 0x480, v0
	v_or_b32_e32 v36, 0x580, v0
	v_or_b32_e32 v32, 0x600, v0
	v_or_b32_e32 v30, 0x680, v0
	v_or_b32_e32 v28, 0x700, v0
	v_mov_b32_e32 v25, v1
	v_mov_b32_e32 v27, v1
	;; [unrolled: 1-line block ×14, first 2 shown]
.LBB0_11:
	s_wait_alu 0xfffe
	s_or_saveexec_b32 s1, s0
	v_lshlrev_b64_e32 v[22:23], 2, v[2:3]
	v_lshlrev_b32_e32 v52, 2, v0
	s_wait_alu 0xfffe
	s_xor_b32 exec_lo, exec_lo, s1
	s_cbranch_execz .LBB0_13
; %bb.12:
	s_delay_alu instid0(VALU_DEP_2) | instskip(SKIP_3) | instid1(VALU_DEP_3)
	v_add_co_u32 v7, s0, s8, v22
	s_wait_alu 0xf1ff
	v_add_co_ci_u32_e64 v8, s0, s9, v23, s0
	v_lshlrev_b32_e32 v9, 2, v42
	v_add_co_u32 v1, s0, v7, v52
	v_or_b32_e32 v10, 0x1e00, v52
	s_wait_alu 0xf1ff
	v_add_co_ci_u32_e64 v2, s0, 0, v8, s0
	v_add_co_u32 v3, s0, v7, v9
	v_or_b32_e32 v19, 0x2e00, v52
	s_wait_alu 0xf1ff
	v_add_co_ci_u32_e64 v4, s0, 0, v8, s0
	v_add_co_u32 v5, s0, v7, v10
	s_wait_alu 0xf1ff
	v_add_co_ci_u32_e64 v6, s0, 0, v8, s0
	v_add_co_u32 v7, s0, v7, v19
	s_wait_alu 0xf1ff
	v_add_co_ci_u32_e64 v8, s0, 0, v8, s0
	s_clause 0x1d
	global_load_b32 v11, v[1:2], off
	global_load_b32 v12, v[1:2], off offset:512
	global_load_b32 v13, v[1:2], off offset:1024
	;; [unrolled: 1-line block ×15, first 2 shown]
	global_load_b32 v5, v[5:6], off
	global_load_b32 v6, v[7:8], off
	global_load_b32 v7, v[1:2], off offset:9216
	global_load_b32 v8, v[1:2], off offset:9728
	;; [unrolled: 1-line block ×10, first 2 shown]
	global_load_b32 v3, v[3:4], off
	global_load_b32 v2, v[1:2], off offset:14848
	v_dual_mov_b32 v1, 0 :: v_dual_add_nc_u32 v4, 0, v52
	v_add_nc_u32_e32 v9, 0, v9
	v_add_nc_u32_e32 v10, 0, v10
	;; [unrolled: 1-line block ×3, first 2 shown]
	s_delay_alu instid0(VALU_DEP_4)
	v_mov_b32_e32 v25, v1
	v_mov_b32_e32 v27, v1
	;; [unrolled: 1-line block ×14, first 2 shown]
	s_wait_loadcnt 0x1c
	ds_store_2addr_stride64_b32 v4, v11, v12 offset1:2
	s_wait_loadcnt 0x1a
	ds_store_2addr_stride64_b32 v4, v13, v14 offset0:4 offset1:6
	s_wait_loadcnt 0x18
	ds_store_2addr_stride64_b32 v4, v15, v16 offset0:8 offset1:10
	;; [unrolled: 2-line block ×9, first 2 shown]
	ds_store_b32 v10, v5
	ds_store_b32 v19, v6
	s_wait_loadcnt 0x6
	ds_store_2addr_stride64_b32 v4, v61, v62 offset0:44 offset1:48
	s_wait_loadcnt 0x4
	ds_store_2addr_stride64_b32 v4, v63, v64 offset0:50 offset1:52
	;; [unrolled: 2-line block ×3, first 2 shown]
	s_wait_loadcnt 0x1
	ds_store_b32 v9, v3
	s_wait_loadcnt 0x0
	ds_store_b32 v4, v2 offset:14848
.LBB0_13:
	s_or_b32 exec_lo, exec_lo, s1
	v_add_nc_u32_e32 v53, 0, v52
	global_wb scope:SCOPE_SE
	s_wait_dscnt 0x0
	s_barrier_signal -1
	s_barrier_wait -1
	global_inv scope:SCOPE_SE
	ds_load_2addr_stride64_b32 v[8:9], v53 offset0:28 offset1:30
	ds_load_2addr_stride64_b32 v[10:11], v53 offset0:40 offset1:42
	;; [unrolled: 1-line block ×10, first 2 shown]
	v_cmp_gt_u32_e64 s0, 0x78, v0
	s_wait_dscnt 0x9
	v_lshrrev_b32_e32 v19, 16, v8
	s_wait_dscnt 0x8
	v_lshrrev_b32_e32 v20, 16, v10
	v_add_f16_e32 v16, v8, v10
	s_wait_dscnt 0x6
	v_add_f16_e32 v57, v4, v2
	v_lshrrev_b32_e32 v17, 16, v4
	v_lshrrev_b32_e32 v18, 16, v2
	v_sub_f16_e32 v61, v19, v20
	v_sub_f16_e32 v21, v2, v10
	s_wait_dscnt 0x5
	v_fma_f16 v57, -0.5, v57, v6
	v_sub_f16_e32 v56, v4, v8
	v_sub_f16_e32 v58, v10, v2
	;; [unrolled: 1-line block ×3, first 2 shown]
	v_fma_f16 v65, -0.5, v16, v6
	v_sub_f16_e32 v16, v17, v18
	v_fmamk_f16 v80, v61, 0xbb9c, v57
	v_fmac_f16_e32 v57, 0x3b9c, v61
	v_lshrrev_b32_e32 v63, 16, v6
	v_add_f16_e32 v21, v56, v21
	v_add_f16_e32 v56, v59, v58
	v_fmamk_f16 v64, v16, 0x3b9c, v65
	v_fmac_f16_e32 v65, 0xbb9c, v16
	v_add_f16_e32 v58, v19, v20
	v_fmac_f16_e32 v80, 0x38b4, v16
	v_fmac_f16_e32 v57, 0xb8b4, v16
	v_add_f16_e32 v16, v17, v18
	v_sub_f16_e32 v60, v4, v2
	v_fma_f16 v81, -0.5, v58, v63
	v_sub_f16_e32 v58, v8, v10
	v_fmac_f16_e32 v64, 0x38b4, v61
	v_fmac_f16_e32 v63, -0.5, v16
	v_fmac_f16_e32 v65, 0xb8b4, v61
	v_fmac_f16_e32 v80, 0x34f2, v56
	v_sub_f16_e32 v59, v17, v19
	v_sub_f16_e32 v61, v18, v20
	v_fmac_f16_e32 v57, 0x34f2, v56
	v_fmamk_f16 v82, v58, 0x3b9c, v63
	s_wait_dscnt 0x1
	v_add_f16_e32 v56, v67, v69
	v_sub_f16_e32 v17, v19, v17
	v_sub_f16_e32 v18, v20, v18
	v_fmac_f16_e32 v63, 0xbb9c, v58
	v_fmac_f16_e32 v64, 0x34f2, v21
	;; [unrolled: 1-line block ×3, first 2 shown]
	v_fmamk_f16 v21, v60, 0xbb9c, v81
	v_fmac_f16_e32 v81, 0x3b9c, v60
	v_fmac_f16_e32 v82, 0xb8b4, v60
	v_fma_f16 v62, -0.5, v56, v55
	v_lshrrev_b32_e32 v56, 16, v67
	v_lshrrev_b32_e32 v70, 16, v69
	v_add_f16_e32 v17, v17, v18
	v_fmac_f16_e32 v63, 0x38b4, v60
	s_wait_dscnt 0x0
	v_add_f16_e32 v18, v15, v13
	v_fmac_f16_e32 v21, 0xb8b4, v58
	v_add_f16_e32 v16, v59, v61
	v_fmac_f16_e32 v81, 0x38b4, v58
	v_lshrrev_b32_e32 v59, 16, v15
	v_lshrrev_b32_e32 v61, 16, v13
	v_sub_f16_e32 v20, v56, v70
	v_sub_f16_e32 v58, v13, v69
	;; [unrolled: 1-line block ×3, first 2 shown]
	v_fmac_f16_e32 v82, 0x34f2, v17
	v_fmac_f16_e32 v63, 0x34f2, v17
	v_fma_f16 v18, -0.5, v18, v55
	v_add_f16_e32 v17, v56, v70
	v_lshrrev_b32_e32 v60, 16, v55
	v_fmac_f16_e32 v21, 0x34f2, v16
	v_fmac_f16_e32 v81, 0x34f2, v16
	v_sub_f16_e32 v16, v59, v61
	v_add_f16_e32 v58, v71, v58
	v_fmamk_f16 v83, v20, 0xbb9c, v18
	v_sub_f16_e32 v71, v69, v13
	v_add_f16_e32 v72, v59, v61
	v_sub_f16_e32 v73, v67, v15
	v_fma_f16 v84, -0.5, v17, v60
	v_sub_f16_e32 v17, v15, v13
	v_fmac_f16_e32 v18, 0x3b9c, v20
	v_fmamk_f16 v19, v16, 0x3b9c, v62
	v_fmac_f16_e32 v62, 0xbb9c, v16
	v_sub_f16_e32 v74, v67, v69
	v_fmac_f16_e32 v60, -0.5, v72
	v_fmac_f16_e32 v83, 0x38b4, v16
	v_add_f16_e32 v71, v73, v71
	v_fmamk_f16 v85, v17, 0xbb9c, v84
	v_sub_f16_e32 v72, v59, v56
	v_sub_f16_e32 v56, v56, v59
	;; [unrolled: 1-line block ×4, first 2 shown]
	v_fmac_f16_e32 v18, 0xb8b4, v16
	v_fmac_f16_e32 v84, 0x3b9c, v17
	;; [unrolled: 1-line block ×4, first 2 shown]
	v_fmamk_f16 v86, v74, 0x3b9c, v60
	v_fmac_f16_e32 v85, 0xb8b4, v74
	v_add_f16_e32 v20, v56, v59
	v_add_f16_e32 v56, v72, v61
	v_fmac_f16_e32 v83, 0x34f2, v71
	v_fmac_f16_e32 v60, 0xbb9c, v74
	v_fmac_f16_e32 v18, 0x34f2, v71
	v_fmac_f16_e32 v84, 0x38b4, v74
	ds_load_2addr_stride64_b32 v[70:71], v53 offset0:24 offset1:26
	ds_load_2addr_stride64_b32 v[72:73], v53 offset0:36 offset1:38
	ds_load_2addr_stride64_b32 v[74:75], v53 offset0:12 offset1:14
	ds_load_2addr_stride64_b32 v[76:77], v53 offset0:48 offset1:50
	v_fmac_f16_e32 v86, 0xb8b4, v17
	ds_load_2addr_stride64_b32 v[78:79], v53 offset1:2
	v_fmac_f16_e32 v19, 0x34f2, v58
	v_fmac_f16_e32 v60, 0x38b4, v17
	;; [unrolled: 1-line block ×5, first 2 shown]
	v_mul_f16_e32 v87, 0x3a79, v19
	v_fmac_f16_e32 v60, 0x34f2, v20
	v_mul_f16_e32 v20, 0x34f2, v18
	v_mul_f16_e32 v88, 0x3b9c, v86
	v_fmac_f16_e32 v84, 0x34f2, v56
	v_fmac_f16_e32 v87, 0x38b4, v85
	v_mul_f16_e32 v58, 0x3a79, v62
	v_mul_f16_e32 v89, 0xb8b4, v19
	v_fmac_f16_e32 v88, 0x34f2, v83
	v_mul_f16_e32 v83, 0xbb9c, v83
	v_mul_f16_e32 v19, 0x34f2, v60
	s_wait_dscnt 0x3
	v_add_f16_e32 v90, v71, v73
	s_wait_dscnt 0x2
	v_lshrrev_b32_e32 v91, 16, v75
	s_wait_dscnt 0x1
	v_lshrrev_b32_e32 v92, 16, v77
	v_add_f16_e32 v17, v64, v87
	v_add_f16_e32 v16, v80, v88
	v_fma_f16 v20, v60, 0x3b9c, -v20
	v_mul_f16_e32 v59, 0x3a79, v84
	v_fma_f16 v84, v84, 0x38b4, -v58
	v_fmac_f16_e32 v89, 0x3a79, v85
	v_fmac_f16_e32 v83, 0x34f2, v86
	v_fma_f16 v85, v18, 0xbb9c, -v19
	v_sub_f16_e32 v64, v64, v87
	v_sub_f16_e32 v19, v80, v88
	s_wait_dscnt 0x0
	v_fma_f16 v80, -0.5, v90, v79
	v_sub_f16_e32 v87, v91, v92
	v_lshrrev_b32_e32 v88, 16, v71
	v_lshrrev_b32_e32 v90, 16, v73
	v_add_f16_e32 v93, v75, v77
	v_add_f16_e32 v56, v57, v20
	v_fma_f16 v86, v62, 0xb8b4, -v59
	v_add_f16_e32 v58, v65, v84
	v_add_f16_e32 v61, v21, v89
	;; [unrolled: 1-line block ×4, first 2 shown]
	v_sub_f16_e32 v18, v57, v20
	v_sub_f16_e32 v20, v65, v84
	;; [unrolled: 1-line block ×4, first 2 shown]
	v_fmamk_f16 v82, v87, 0x3b9c, v80
	v_sub_f16_e32 v83, v88, v90
	v_sub_f16_e32 v84, v77, v73
	;; [unrolled: 1-line block ×3, first 2 shown]
	v_fmac_f16_e32 v80, 0xbb9c, v87
	v_sub_f16_e32 v57, v63, v85
	v_fma_f16 v85, -0.5, v93, v79
	v_add_f16_e32 v60, v81, v86
	v_fmac_f16_e32 v82, 0x38b4, v83
	v_add_f16_e32 v84, v89, v84
	v_fmac_f16_e32 v80, 0xb8b4, v83
	v_sub_f16_e32 v89, v73, v77
	v_sub_f16_e32 v93, v71, v75
	;; [unrolled: 1-line block ×3, first 2 shown]
	v_fmamk_f16 v81, v83, 0xbb9c, v85
	v_fmac_f16_e32 v85, 0x3b9c, v83
	v_add_f16_e32 v83, v88, v90
	v_lshrrev_b32_e32 v86, 16, v79
	v_fmac_f16_e32 v82, 0x34f2, v84
	v_fmac_f16_e32 v80, 0x34f2, v84
	v_add_f16_e32 v84, v93, v89
	v_sub_f16_e32 v89, v91, v88
	v_sub_f16_e32 v93, v92, v90
	v_fma_f16 v83, -0.5, v83, v86
	v_sub_f16_e32 v95, v75, v77
	v_fmac_f16_e32 v81, 0x38b4, v87
	v_add_f16_e32 v94, v91, v92
	v_fmac_f16_e32 v85, 0xb8b4, v87
	v_add_f16_e32 v87, v89, v93
	v_pk_add_f16 v15, v55, v15
	v_fmamk_f16 v55, v95, 0xbb9c, v83
	v_sub_f16_e32 v89, v71, v73
	v_fmac_f16_e32 v83, 0x3b9c, v95
	v_fmac_f16_e32 v86, -0.5, v94
	v_pk_add_f16 v15, v15, v67
	v_sub_f16_e32 v67, v88, v91
	v_sub_f16_e32 v88, v90, v92
	v_fmac_f16_e32 v55, 0xb8b4, v89
	v_fmac_f16_e32 v83, 0x38b4, v89
	v_pk_add_f16 v15, v15, v69
	v_fmac_f16_e32 v81, 0x34f2, v84
	v_fmac_f16_e32 v85, 0x34f2, v84
	;; [unrolled: 1-line block ×4, first 2 shown]
	v_fmamk_f16 v69, v89, 0x3b9c, v86
	v_add_f16_e32 v67, v67, v88
	v_pk_add_f16 v84, v54, v14
	v_fmac_f16_e32 v86, 0xbb9c, v89
	v_sub_f16_e32 v87, v12, v68
	v_sub_f16_e32 v88, v14, v66
	v_add_f16_e32 v89, v66, v68
	v_lshrrev_b32_e32 v90, 16, v14
	v_lshrrev_b32_e32 v91, 16, v12
	v_pk_add_f16 v84, v84, v66
	v_add_f16_e32 v87, v88, v87
	v_lshrrev_b32_e32 v88, 16, v68
	v_add_f16_e32 v92, v14, v12
	v_lshrrev_b32_e32 v93, 16, v66
	v_fma_f16 v89, -0.5, v89, v54
	v_sub_f16_e32 v94, v90, v91
	v_fmac_f16_e32 v69, 0xb8b4, v95
	v_fmac_f16_e32 v86, 0x38b4, v95
	v_pk_add_f16 v84, v84, v68
	v_sub_f16_e32 v95, v68, v12
	v_fma_f16 v92, -0.5, v92, v54
	v_sub_f16_e32 v96, v93, v88
	v_sub_f16_e32 v68, v66, v68
	v_fmamk_f16 v97, v94, 0x3b9c, v89
	v_fmac_f16_e32 v89, 0xbb9c, v94
	v_sub_f16_e32 v66, v66, v14
	v_fmamk_f16 v98, v96, 0xbb9c, v92
	v_fmac_f16_e32 v92, 0x3b9c, v96
	v_fmac_f16_e32 v97, 0x38b4, v96
	;; [unrolled: 1-line block ×3, first 2 shown]
	v_add_f16_e32 v66, v66, v95
	v_fmac_f16_e32 v69, 0x34f2, v67
	v_fmac_f16_e32 v86, 0x34f2, v67
	v_lshrrev_b32_e32 v54, 16, v54
	v_add_f16_e32 v67, v93, v88
	v_add_f16_e32 v95, v90, v91
	v_fmac_f16_e32 v98, 0x38b4, v94
	v_fmac_f16_e32 v92, 0xb8b4, v94
	;; [unrolled: 1-line block ×4, first 2 shown]
	v_sub_f16_e32 v87, v90, v93
	v_sub_f16_e32 v94, v91, v88
	v_fma_f16 v67, -0.5, v67, v54
	v_fmac_f16_e32 v54, -0.5, v95
	v_fmac_f16_e32 v98, 0x34f2, v66
	v_sub_f16_e32 v14, v14, v12
	v_fmac_f16_e32 v92, 0x34f2, v66
	v_add_f16_e32 v66, v87, v94
	v_sub_f16_e32 v87, v93, v90
	v_pk_add_f16 v75, v79, v75
	v_sub_f16_e32 v79, v88, v91
	v_fmamk_f16 v88, v68, 0x3b9c, v54
	v_fmamk_f16 v90, v14, 0xbb9c, v67
	v_fmac_f16_e32 v67, 0x3b9c, v14
	v_pk_add_f16 v71, v75, v71
	v_add_f16_e32 v75, v87, v79
	v_fmac_f16_e32 v88, 0xb8b4, v14
	v_fmac_f16_e32 v54, 0xbb9c, v68
	;; [unrolled: 1-line block ×4, first 2 shown]
	v_pk_add_f16 v68, v71, v73
	v_fmac_f16_e32 v88, 0x34f2, v75
	v_fmac_f16_e32 v54, 0x38b4, v14
	v_pk_add_f16 v13, v15, v13
	v_fmac_f16_e32 v67, 0x34f2, v66
	v_mul_f16_e32 v73, 0x34f2, v92
	v_mul_f16_e32 v15, 0x3b9c, v88
	v_fmac_f16_e32 v54, 0x34f2, v75
	v_mul_f16_e32 v75, 0x3a79, v89
	v_fmac_f16_e32 v90, 0x34f2, v66
	v_mul_f16_e32 v71, 0x3a79, v97
	v_mul_f16_e32 v66, 0xb8b4, v97
	v_fmac_f16_e32 v15, 0x34f2, v98
	v_mul_f16_e32 v79, 0xbb9c, v98
	v_fma_f16 v73, v54, 0x3b9c, -v73
	v_mul_f16_e32 v54, 0x34f2, v54
	v_fma_f16 v75, v67, 0x38b4, -v75
	v_mul_f16_e32 v67, 0x3a79, v67
	v_pk_add_f16 v14, v68, v77
	v_fmac_f16_e32 v71, 0x38b4, v90
	v_fmac_f16_e32 v66, 0x3a79, v90
	v_add_f16_e32 v77, v81, v15
	v_fmac_f16_e32 v79, 0x34f2, v88
	v_fma_f16 v54, v92, 0xbb9c, -v54
	v_fma_f16 v67, v89, 0xb8b4, -v67
	v_sub_f16_e32 v15, v81, v15
	v_pk_add_f16 v81, v78, v74
	v_pk_add_f16 v12, v84, v12
	v_add_f16_e32 v68, v82, v71
	v_add_f16_e32 v84, v85, v73
	v_add_f16_e32 v87, v80, v75
	v_add_f16_e32 v88, v55, v66
	v_sub_f16_e32 v71, v82, v71
	v_add_f16_e32 v82, v69, v79
	v_sub_f16_e32 v73, v85, v73
	v_add_f16_e32 v85, v86, v54
	;; [unrolled: 2-line block ×3, first 2 shown]
	v_pk_add_f16 v81, v81, v70
	v_sub_f16_e32 v66, v55, v66
	v_sub_f16_e32 v69, v69, v79
	v_sub_f16_e32 v79, v86, v54
	v_sub_f16_e32 v67, v83, v67
	v_lshrrev_b32_e32 v55, 16, v76
	v_add_f16_e32 v83, v70, v72
	v_lshrrev_b32_e32 v86, 16, v74
	v_pk_add_f16 v54, v81, v72
	v_lshrrev_b32_e32 v91, 16, v70
	v_lshrrev_b32_e32 v93, 16, v72
	v_fma_f16 v83, -0.5, v83, v78
	v_sub_f16_e32 v92, v86, v55
	v_sub_f16_e32 v81, v76, v72
	v_add_f16_e32 v89, v74, v76
	v_sub_f16_e32 v90, v72, v76
	v_pk_add_f16 v94, v54, v76
	v_sub_f16_e32 v54, v74, v76
	v_sub_f16_e32 v76, v74, v70
	v_fmamk_f16 v95, v92, 0x3b9c, v83
	v_sub_f16_e32 v96, v91, v93
	v_fmac_f16_e32 v83, 0xbb9c, v92
	v_sub_f16_e32 v74, v70, v74
	v_add_f16_e32 v76, v76, v81
	v_fma_f16 v89, -0.5, v89, v78
	v_fmac_f16_e32 v95, 0x38b4, v96
	v_fmac_f16_e32 v83, 0xb8b4, v96
	v_add_f16_e32 v74, v74, v90
	v_sub_f16_e32 v81, v86, v91
	v_sub_f16_e32 v90, v55, v93
	v_fmac_f16_e32 v95, 0x34f2, v76
	v_fmac_f16_e32 v83, 0x34f2, v76
	v_lshrrev_b32_e32 v76, 16, v78
	v_add_f16_e32 v78, v91, v93
	v_sub_f16_e32 v70, v70, v72
	v_fmamk_f16 v72, v96, 0xbb9c, v89
	v_fmac_f16_e32 v89, 0x3b9c, v96
	v_add_f16_e32 v96, v86, v55
	v_fma_f16 v78, -0.5, v78, v76
	v_pk_add_f16 v4, v6, v4
	v_add_f16_e32 v6, v81, v90
	v_sub_f16_e32 v55, v93, v55
	v_fmac_f16_e32 v76, -0.5, v96
	v_fmamk_f16 v81, v54, 0xbb9c, v78
	v_fmac_f16_e32 v78, 0x3b9c, v54
	v_pk_add_f16 v4, v4, v8
	v_sub_f16_e32 v8, v91, v86
	v_fmac_f16_e32 v72, 0x38b4, v92
	v_fmac_f16_e32 v81, 0xb8b4, v70
	;; [unrolled: 1-line block ×4, first 2 shown]
	v_add_f16_e32 v8, v8, v55
	v_sub_f16_e32 v55, v3, v11
	v_fmac_f16_e32 v81, 0x34f2, v6
	v_fmac_f16_e32 v78, 0x34f2, v6
	v_fmamk_f16 v6, v70, 0x3b9c, v76
	v_fmac_f16_e32 v76, 0xbb9c, v70
	v_sub_f16_e32 v70, v5, v9
	v_pk_add_f16 v4, v4, v10
	v_pk_add_f16 v10, v7, v5
	v_add_f16_e32 v90, v5, v3
	v_lshrrev_b32_e32 v91, 16, v9
	v_add_f16_e32 v55, v70, v55
	v_lshrrev_b32_e32 v70, 16, v11
	v_fmac_f16_e32 v72, 0x34f2, v74
	v_fmac_f16_e32 v89, 0x34f2, v74
	;; [unrolled: 1-line block ×3, first 2 shown]
	v_pk_add_f16 v10, v10, v9
	v_fmac_f16_e32 v76, 0x38b4, v54
	v_add_f16_e32 v54, v9, v11
	v_lshrrev_b32_e32 v74, 16, v5
	v_lshrrev_b32_e32 v86, 16, v3
	v_fma_f16 v90, -0.5, v90, v7
	v_sub_f16_e32 v96, v91, v70
	v_pk_add_f16 v10, v10, v11
	v_fma_f16 v92, -0.5, v54, v7
	v_sub_f16_e32 v54, v74, v86
	v_sub_f16_e32 v93, v11, v3
	v_sub_f16_e32 v11, v9, v11
	v_sub_f16_e32 v9, v9, v5
	v_fmamk_f16 v98, v96, 0xbb9c, v90
	v_fmac_f16_e32 v90, 0x3b9c, v96
	v_fmamk_f16 v97, v54, 0x3b9c, v92
	v_fmac_f16_e32 v92, 0xbb9c, v54
	v_add_f16_e32 v9, v9, v93
	v_fmac_f16_e32 v98, 0x38b4, v54
	v_fmac_f16_e32 v90, 0xb8b4, v54
	;; [unrolled: 1-line block ×4, first 2 shown]
	v_add_f16_e32 v8, v91, v70
	v_fmac_f16_e32 v98, 0x34f2, v9
	v_fmac_f16_e32 v90, 0x34f2, v9
	v_lshrrev_b32_e32 v7, 16, v7
	v_sub_f16_e32 v9, v74, v91
	v_sub_f16_e32 v54, v86, v70
	v_pk_add_f16 v2, v4, v2
	v_sub_f16_e32 v5, v5, v3
	v_fma_f16 v4, -0.5, v8, v7
	v_fmac_f16_e32 v97, 0x38b4, v96
	v_add_f16_e32 v8, v9, v54
	v_add_f16_e32 v9, v74, v86
	v_pk_add_f16 v3, v10, v3
	v_sub_f16_e32 v10, v91, v74
	v_fmamk_f16 v74, v5, 0xbb9c, v4
	v_fmac_f16_e32 v4, 0x3b9c, v5
	v_fmac_f16_e32 v7, -0.5, v9
	v_sub_f16_e32 v54, v70, v86
	v_fmac_f16_e32 v92, 0xb8b4, v96
	v_fmac_f16_e32 v97, 0x34f2, v55
	;; [unrolled: 1-line block ×3, first 2 shown]
	v_fmamk_f16 v70, v11, 0x3b9c, v7
	v_fmac_f16_e32 v7, 0xbb9c, v11
	v_fmac_f16_e32 v4, 0x38b4, v11
	v_add_f16_e32 v10, v10, v54
	v_fmac_f16_e32 v92, 0x34f2, v55
	v_fmac_f16_e32 v70, 0xb8b4, v5
	;; [unrolled: 1-line block ×4, first 2 shown]
	v_mul_f16_e32 v5, 0x3a79, v97
	v_fmac_f16_e32 v4, 0x34f2, v8
	v_mul_f16_e32 v8, 0xb8b4, v97
	v_fmac_f16_e32 v70, 0x34f2, v10
	v_fmac_f16_e32 v7, 0x34f2, v10
	v_mul_f16_e32 v11, 0x34f2, v90
	v_fmac_f16_e32 v5, 0x38b4, v74
	v_fmac_f16_e32 v8, 0x3a79, v74
	v_mul_f16_e32 v74, 0x3a79, v92
	v_mul_f16_e32 v10, 0x3b9c, v70
	;; [unrolled: 1-line block ×3, first 2 shown]
	v_fma_f16 v11, v7, 0x3b9c, -v11
	v_mul_f16_e32 v7, 0x34f2, v7
	v_fma_f16 v74, v4, 0x38b4, -v74
	v_mul_f16_e32 v4, 0x3a79, v4
	v_fmac_f16_e32 v10, 0x34f2, v98
	v_fmac_f16_e32 v86, 0x34f2, v70
	v_fma_f16 v7, v90, 0xbb9c, -v7
	v_mul_u32_u24_e32 v9, 10, v0
	v_fma_f16 v4, v92, 0xb8b4, -v4
	v_add_f16_e32 v91, v95, v5
	v_add_f16_e32 v92, v72, v10
	v_sub_f16_e32 v10, v72, v10
	v_add_f16_e32 v72, v89, v11
	v_sub_f16_e32 v11, v89, v11
	v_add_f16_e32 v89, v83, v74
	v_sub_f16_e32 v74, v83, v74
	v_add_f16_e32 v83, v81, v8
	v_sub_f16_e32 v8, v81, v8
	v_add_f16_e32 v81, v6, v86
	v_sub_f16_e32 v6, v6, v86
	v_add_f16_e32 v86, v76, v7
	v_sub_f16_e32 v7, v76, v7
	v_add_f16_e32 v76, v78, v4
	v_sub_f16_e32 v5, v95, v5
	v_sub_f16_e32 v4, v78, v4
	v_lshl_add_u32 v9, v9, 2, 0
	v_pk_add_f16 v78, v94, v3
	v_pack_b32_f16 v83, v91, v83
	v_pack_b32_f16 v72, v72, v86
	;; [unrolled: 1-line block ×3, first 2 shown]
	v_pk_add_f16 v3, v94, v3 neg_lo:[0,1] neg_hi:[0,1]
	v_pack_b32_f16 v76, v89, v76
	v_pack_b32_f16 v5, v5, v8
	;; [unrolled: 1-line block ×5, first 2 shown]
	global_wb scope:SCOPE_SE
	s_barrier_signal -1
	s_barrier_wait -1
	global_inv scope:SCOPE_SE
	ds_store_2addr_b32 v9, v78, v83 offset1:1
	ds_store_2addr_b32 v9, v81, v72 offset0:2 offset1:3
	ds_store_2addr_b32 v9, v76, v3 offset0:4 offset1:5
	;; [unrolled: 1-line block ×4, first 2 shown]
	v_mul_lo_u16 v4, 0x67, v0
	v_mul_i32_i24_e32 v55, 10, v24
	v_pk_add_f16 v90, v14, v12
	v_pack_b32_f16 v3, v68, v88
	v_pack_b32_f16 v5, v84, v85
	v_lshrrev_b16 v74, 10, v4
	v_lshl_add_u32 v55, v55, 2, 0
	v_pack_b32_f16 v6, v77, v82
	v_pk_add_f16 v7, v14, v12 neg_lo:[0,1] neg_hi:[0,1]
	v_pack_b32_f16 v8, v87, v80
	v_pack_b32_f16 v4, v71, v66
	;; [unrolled: 1-line block ×3, first 2 shown]
	v_mul_lo_u16 v12, v74, 10
	v_pack_b32_f16 v10, v75, v67
	v_pack_b32_f16 v11, v73, v79
	v_mul_i32_i24_e32 v54, 10, v26
	ds_store_2addr_b32 v55, v90, v3 offset1:1
	ds_store_2addr_b32 v55, v6, v5 offset0:2 offset1:3
	ds_store_2addr_b32 v55, v8, v7 offset0:4 offset1:5
	;; [unrolled: 1-line block ×4, first 2 shown]
	v_pack_b32_f16 v4, v56, v62
	v_and_b32_e32 v62, 0xff, v24
	v_sub_nc_u16 v5, v0, v12
	v_lshl_add_u32 v54, v54, 2, 0
	v_pk_add_f16 v70, v2, v13
	v_pack_b32_f16 v3, v17, v61
	v_pack_b32_f16 v9, v20, v63
	v_mul_lo_u16 v12, 0xcd, v62
	v_and_b32_e32 v63, 0xffff, v26
	v_pack_b32_f16 v6, v16, v59
	v_pk_add_f16 v2, v2, v13 neg_lo:[0,1] neg_hi:[0,1]
	v_pack_b32_f16 v7, v58, v60
	v_pack_b32_f16 v8, v64, v65
	v_and_b32_e32 v75, 0xff, v5
	v_pack_b32_f16 v5, v19, v21
	ds_store_2addr_b32 v54, v70, v3 offset1:1
	ds_store_2addr_b32 v54, v6, v4 offset0:2 offset1:3
	ds_store_2addr_b32 v54, v7, v2 offset0:4 offset1:5
	ds_store_2addr_b32 v54, v8, v5 offset0:6 offset1:7
	v_lshrrev_b16 v72, 11, v12
	v_mul_u32_u24_e32 v2, 0xcccd, v63
	v_mul_u32_u24_e32 v11, 5, v75
	v_pack_b32_f16 v10, v18, v57
	v_and_b32_e32 v64, 0xffff, v50
	v_mul_lo_u16 v6, v72, 10
	v_lshrrev_b32_e32 v66, 19, v2
	v_lshlrev_b32_e32 v56, 2, v11
	ds_store_2addr_b32 v54, v10, v9 offset0:8 offset1:9
	global_wb scope:SCOPE_SE
	s_wait_dscnt 0x0
	v_sub_nc_u16 v6, v24, v6
	v_mul_lo_u16 v7, v66, 10
	s_barrier_signal -1
	s_barrier_wait -1
	global_inv scope:SCOPE_SE
	global_load_b128 v[2:5], v56, s[4:5]
	v_and_b32_e32 v73, 0xff, v6
	v_sub_nc_u16 v6, v26, v7
	v_mul_u32_u24_e32 v11, 0xcccd, v64
	v_and_b32_e32 v65, 0xffff, v48
	v_mad_i32_i24 v61, 0xffffffdc, v26, v54
	v_mul_u32_u24_e32 v7, 5, v73
	v_and_b32_e32 v67, 0xffff, v6
	v_lshrrev_b32_e32 v68, 19, v11
	v_and_b32_e32 v72, 0xffff, v72
	v_lshlrev_b32_e32 v73, 2, v73
	v_lshlrev_b32_e32 v57, 2, v7
	v_mul_u32_u24_e32 v10, 5, v67
	v_mul_lo_u16 v14, v68, 10
	v_mul_u32_u24_e32 v66, 0xf0, v66
	v_lshlrev_b32_e32 v67, 2, v67
	global_load_b128 v[6:9], v57, s[4:5]
	v_lshlrev_b32_e32 v58, 2, v10
	v_sub_nc_u16 v14, v50, v14
	global_load_b128 v[10:13], v58, s[4:5]
	v_and_b32_e32 v69, 0xffff, v14
	s_delay_alu instid0(VALU_DEP_1) | instskip(NEXT) | instid1(VALU_DEP_1)
	v_mul_u32_u24_e32 v14, 5, v69
	v_lshlrev_b32_e32 v59, 2, v14
	v_mul_u32_u24_e32 v14, 0xcccd, v65
	global_load_b128 v[18:21], v59, s[4:5]
	v_lshrrev_b32_e32 v70, 19, v14
	s_delay_alu instid0(VALU_DEP_1) | instskip(NEXT) | instid1(VALU_DEP_1)
	v_mul_lo_u16 v14, v70, 10
	v_sub_nc_u16 v14, v48, v14
	s_delay_alu instid0(VALU_DEP_1) | instskip(NEXT) | instid1(VALU_DEP_1)
	v_and_b32_e32 v71, 0xffff, v14
	v_mul_u32_u24_e32 v14, 5, v71
	s_delay_alu instid0(VALU_DEP_1)
	v_lshlrev_b32_e32 v60, 2, v14
	s_clause 0x5
	global_load_b128 v[14:17], v60, s[4:5]
	global_load_b32 v77, v56, s[4:5] offset:16
	global_load_b32 v80, v57, s[4:5] offset:16
	;; [unrolled: 1-line block ×5, first 2 shown]
	v_lshl_add_u32 v56, v34, 2, 0
	v_lshl_add_u32 v58, v50, 2, 0
	;; [unrolled: 1-line block ×3, first 2 shown]
	v_mad_i32_i24 v60, 0xffffffdc, v24, v55
	v_lshl_add_u32 v59, v46, 2, 0
	ds_load_b32 v94, v56
	ds_load_b32 v95, v58
	;; [unrolled: 1-line block ×5, first 2 shown]
	ds_load_2addr_stride64_b32 v[82:83], v53 offset0:28 offset1:30
	ds_load_2addr_stride64_b32 v[84:85], v53 offset0:40 offset1:42
	;; [unrolled: 1-line block ×5, first 2 shown]
	ds_load_b32 v97, v61
	s_wait_dscnt 0xa
	v_lshrrev_b32_e32 v98, 16, v94
	s_wait_dscnt 0x6
	v_lshrrev_b32_e32 v99, 16, v92
	;; [unrolled: 2-line block ×4, first 2 shown]
	v_lshrrev_b32_e32 v104, 16, v85
	s_wait_dscnt 0x3
	v_lshrrev_b32_e32 v102, 16, v87
	s_wait_dscnt 0x2
	v_lshrrev_b32_e32 v116, 16, v88
	v_lshrrev_b32_e32 v117, 16, v82
	s_wait_loadcnt 0x9
	v_lshrrev_b32_e32 v93, 16, v2
	v_lshrrev_b32_e32 v105, 16, v3
	;; [unrolled: 1-line block ×4, first 2 shown]
	s_delay_alu instid0(VALU_DEP_4)
	v_mul_f16_e32 v103, v93, v99
	v_mul_f16_e32 v107, v93, v92
	;; [unrolled: 1-line block ×5, first 2 shown]
	v_fma_f16 v103, v2, v92, -v103
	v_fmac_f16_e32 v107, v2, v99
	v_fma_f16 v94, v94, v3, -v108
	v_fmac_f16_e32 v105, v98, v3
	ds_load_2addr_stride64_b32 v[2:3], v53 offset0:44 offset1:46
	ds_load_2addr_stride64_b32 v[92:93], v53 offset0:24 offset1:26
	v_fma_f16 v98, v83, v4, -v109
	v_mul_f16_e32 v83, v83, v106
	v_mul_f16_e32 v106, v101, v110
	;; [unrolled: 1-line block ×3, first 2 shown]
	s_wait_loadcnt 0x8
	v_lshrrev_b32_e32 v99, 16, v9
	v_lshrrev_b32_e32 v110, 16, v89
	v_fmac_f16_e32 v83, v100, v4
	s_wait_loadcnt 0x7
	v_lshrrev_b32_e32 v4, 16, v10
	v_fma_f16 v84, v84, v5, -v106
	v_fmac_f16_e32 v108, v101, v5
	s_wait_dscnt 0x3
	v_lshrrev_b32_e32 v5, 16, v90
	v_lshrrev_b32_e32 v111, 16, v12
	v_mul_f16_e32 v101, v90, v4
	v_mul_f16_e32 v109, v104, v99
	v_lshrrev_b32_e32 v106, 16, v11
	v_mul_f16_e32 v4, v5, v4
	v_mul_f16_e32 v113, v110, v111
	v_fmac_f16_e32 v101, v5, v10
	v_lshrrev_b32_e32 v5, 16, v13
	v_mul_f16_e32 v111, v89, v111
	s_wait_dscnt 0x1
	v_lshrrev_b32_e32 v114, 16, v2
	v_fma_f16 v100, v85, v9, -v109
	s_wait_dscnt 0x0
	v_lshrrev_b32_e32 v109, 16, v92
	v_mul_f16_e32 v115, v2, v5
	v_fma_f16 v89, v89, v12, -v113
	v_fmac_f16_e32 v111, v110, v12
	v_mul_f16_e32 v12, v114, v5
	v_fma_f16 v90, v90, v10, -v4
	ds_load_2addr_stride64_b32 v[4:5], v53 offset0:36 offset1:38
	v_mul_f16_e32 v112, v92, v106
	v_mul_f16_e32 v106, v109, v106
	v_lshrrev_b32_e32 v10, 16, v91
	v_mul_f16_e32 v85, v85, v99
	v_lshrrev_b32_e32 v99, 16, v3
	v_fmac_f16_e32 v112, v109, v11
	v_fma_f16 v92, v92, v11, -v106
	s_wait_loadcnt 0x6
	v_lshrrev_b32_e32 v11, 16, v18
	v_lshrrev_b32_e32 v109, 16, v21
	v_fmac_f16_e32 v115, v114, v13
	v_fma_f16 v12, v2, v13, -v12
	v_lshrrev_b32_e32 v2, 16, v93
	v_lshrrev_b32_e32 v13, 16, v19
	v_mul_f16_e32 v106, v10, v11
	v_mul_f16_e32 v113, v99, v109
	v_lshrrev_b32_e32 v114, 16, v20
	v_mul_f16_e32 v109, v3, v109
	v_mul_f16_e32 v110, v2, v13
	v_fma_f16 v106, v91, v18, -v106
	v_mul_f16_e32 v91, v91, v11
	v_mul_f16_e32 v13, v93, v13
	v_fma_f16 v113, v3, v21, -v113
	s_wait_dscnt 0x0
	v_lshrrev_b32_e32 v3, 16, v4
	v_lshrrev_b32_e32 v11, 16, v7
	v_fmac_f16_e32 v91, v10, v18
	v_mul_f16_e32 v18, v4, v114
	v_fmac_f16_e32 v13, v2, v19
	v_mul_f16_e32 v2, v3, v114
	v_fma_f16 v110, v93, v19, -v110
	v_lshrrev_b32_e32 v93, 16, v8
	v_fmac_f16_e32 v18, v3, v20
	v_fmac_f16_e32 v109, v99, v21
	v_fma_f16 v20, v4, v20, -v2
	ds_load_2addr_stride64_b32 v[2:3], v53 offset0:48 offset1:50
	v_lshrrev_b32_e32 v21, 16, v86
	s_wait_loadcnt 0x5
	v_lshrrev_b32_e32 v99, 16, v14
	v_mul_f16_e32 v114, v88, v93
	v_mul_f16_e32 v4, v102, v11
	;; [unrolled: 1-line block ×3, first 2 shown]
	v_lshrrev_b32_e32 v118, 16, v15
	v_mul_f16_e32 v19, v87, v11
	v_mul_f16_e32 v119, v21, v99
	v_fma_f16 v87, v87, v7, -v4
	v_fma_f16 v88, v88, v8, -v93
	v_mul_f16_e32 v4, v117, v118
	v_lshrrev_b32_e32 v93, 16, v5
	v_lshrrev_b32_e32 v120, 16, v16
	v_fma_f16 v119, v86, v14, -v119
	v_mul_f16_e32 v86, v86, v99
	v_fma_f16 v99, v82, v15, -v4
	v_mul_f16_e32 v82, v82, v118
	v_mul_f16_e32 v4, v93, v120
	;; [unrolled: 1-line block ×3, first 2 shown]
	v_lshrrev_b32_e32 v120, 16, v17
	s_wait_dscnt 0x0
	v_lshrrev_b32_e32 v121, 16, v2
	v_lshrrev_b32_e32 v122, 16, v3
	s_wait_loadcnt 0x4
	v_lshrrev_b32_e32 v123, 16, v77
	ds_load_2addr_stride64_b32 v[10:11], v53 offset1:12
	v_fma_f16 v124, v5, v16, -v4
	v_mul_f16_e32 v5, v121, v120
	v_mul_f16_e32 v120, v2, v120
	;; [unrolled: 1-line block ×3, first 2 shown]
	v_fmac_f16_e32 v19, v102, v7
	v_fmac_f16_e32 v85, v104, v9
	v_fma_f16 v128, v2, v17, -v5
	v_mul_f16_e32 v2, v3, v123
	v_fma_f16 v3, v3, v77, -v125
	v_add_f16_e32 v7, v94, v84
	v_add_f16_e32 v9, v103, v98
	v_lshrrev_b32_e32 v4, 16, v6
	v_fmac_f16_e32 v2, v122, v77
	v_add_f16_e32 v5, v98, v3
	v_fmac_f16_e32 v114, v116, v8
	v_fmac_f16_e32 v86, v21, v14
	v_add_f16_e32 v77, v107, v83
	v_add_f16_e32 v14, v83, v2
	v_fmac_f16_e32 v103, -0.5, v5
	v_sub_f16_e32 v5, v83, v2
	s_wait_dscnt 0x0
	v_lshrrev_b32_e32 v126, 16, v11
	v_lshrrev_b32_e32 v8, 16, v10
	v_add_f16_e32 v21, v10, v94
	v_fmac_f16_e32 v10, -0.5, v7
	v_fmamk_f16 v83, v5, 0x3aee, v103
	v_fmac_f16_e32 v103, 0xbaee, v5
	v_sub_f16_e32 v5, v105, v108
	v_mul_f16_e32 v127, v11, v4
	v_mul_f16_e32 v4, v126, v4
	v_fmac_f16_e32 v107, -0.5, v14
	v_sub_f16_e32 v14, v98, v3
	v_fmac_f16_e32 v82, v117, v15
	v_fmamk_f16 v15, v5, 0x3aee, v10
	v_fmac_f16_e32 v10, 0xbaee, v5
	v_add_f16_e32 v5, v8, v105
	v_fmac_f16_e32 v127, v126, v6
	v_fmamk_f16 v7, v14, 0xbaee, v107
	v_fmac_f16_e32 v107, 0x3aee, v14
	v_mul_f16_e32 v14, -0.5, v103
	v_fma_f16 v6, v11, v6, -v4
	v_add_f16_e32 v4, v5, v108
	v_add_f16_e32 v5, v21, v84
	v_and_b32_e32 v21, 0xffff, v74
	v_fmac_f16_e32 v14, 0x3aee, v107
	v_add_f16_e32 v9, v9, v3
	v_add_f16_e32 v74, v77, v2
	v_lshlrev_b32_e32 v3, 2, v75
	v_mul_u32_u24_e32 v2, 0xf0, v21
	v_fmac_f16_e32 v118, v93, v16
	v_add_f16_e32 v16, v105, v108
	v_add_f16_e32 v11, v10, v14
	v_sub_f16_e32 v10, v10, v14
	v_sub_f16_e32 v14, v94, v84
	v_add3_u32 v84, 0, v2, v3
	ds_load_2addr_stride64_b32 v[2:3], v53 offset0:52 offset1:54
	v_fmac_f16_e32 v120, v121, v17
	v_fmac_f16_e32 v8, -0.5, v16
	v_mul_f16_e32 v16, 0x3aee, v7
	v_mul_f16_e32 v17, 0xbaee, v83
	v_mul_f16_e32 v93, -0.5, v107
	v_add_f16_e32 v21, v5, v9
	v_add_f16_e32 v75, v4, v74
	v_fmac_f16_e32 v16, 0.5, v83
	v_fmac_f16_e32 v17, 0.5, v7
	v_fmamk_f16 v7, v14, 0xbaee, v8
	v_fmac_f16_e32 v8, 0x3aee, v14
	v_fmac_f16_e32 v93, 0xbaee, v103
	v_add_f16_e32 v77, v15, v16
	v_sub_f16_e32 v9, v5, v9
	v_add_f16_e32 v83, v7, v17
	v_sub_f16_e32 v14, v4, v74
	ds_load_2addr_stride64_b32 v[4:5], v53 offset0:56 offset1:58
	v_sub_f16_e32 v15, v15, v16
	v_add_f16_e32 v16, v8, v93
	v_sub_f16_e32 v7, v7, v17
	v_sub_f16_e32 v8, v8, v93
	v_pack_b32_f16 v21, v21, v75
	v_pack_b32_f16 v75, v77, v83
	;; [unrolled: 1-line block ×4, first 2 shown]
	s_wait_loadcnt 0x3
	v_lshrrev_b32_e32 v14, 16, v80
	v_pack_b32_f16 v8, v10, v8
	s_wait_dscnt 0x1
	v_lshrrev_b32_e32 v10, 16, v2
	v_pack_b32_f16 v11, v11, v16
	global_wb scope:SCOPE_SE
	s_wait_loadcnt_dscnt 0x0
	s_barrier_signal -1
	s_barrier_wait -1
	global_inv scope:SCOPE_SE
	ds_store_2addr_b32 v84, v21, v75 offset1:10
	ds_store_2addr_b32 v84, v11, v9 offset0:20 offset1:30
	v_mul_f16_e32 v9, v2, v14
	ds_store_2addr_b32 v84, v7, v8 offset0:40 offset1:50
	v_mul_f16_e32 v7, v10, v14
	v_lshrrev_b32_e32 v8, 16, v3
	v_lshrrev_b32_e32 v11, 16, v79
	v_fmac_f16_e32 v9, v10, v80
	v_lshrrev_b32_e32 v10, 16, v78
	v_fma_f16 v2, v2, v80, -v7
	v_lshrrev_b32_e32 v14, 16, v4
	v_mul_f16_e32 v7, v8, v11
	v_add_f16_e32 v21, v114, v9
	v_mul_f16_e32 v11, v3, v11
	v_add_f16_e32 v74, v88, v2
	v_mul_f16_e32 v15, v4, v10
	v_mul_f16_e32 v10, v14, v10
	v_add_f16_e32 v75, v127, v114
	v_fmac_f16_e32 v127, -0.5, v21
	v_add_f16_e32 v21, v6, v88
	v_sub_f16_e32 v77, v88, v2
	v_fmac_f16_e32 v6, -0.5, v74
	v_sub_f16_e32 v74, v114, v9
	v_lshrrev_b32_e32 v16, 16, v5
	v_lshrrev_b32_e32 v17, 16, v76
	v_fma_f16 v3, v3, v79, -v7
	v_fmac_f16_e32 v11, v8, v79
	v_fmac_f16_e32 v15, v14, v78
	v_fma_f16 v4, v4, v78, -v10
	v_add_f16_e32 v8, v87, v100
	v_lshrrev_b32_e32 v10, 16, v96
	v_add_f16_e32 v78, v19, v85
	v_fmamk_f16 v79, v77, 0xbaee, v127
	v_fmamk_f16 v80, v74, 0x3aee, v6
	v_mul_f16_e32 v7, v16, v17
	v_mul_f16_e32 v14, v5, v17
	v_add_f16_e32 v17, v96, v87
	v_fmac_f16_e32 v96, -0.5, v8
	v_add_f16_e32 v8, v10, v19
	v_sub_f16_e32 v19, v19, v85
	v_fmac_f16_e32 v10, -0.5, v78
	v_sub_f16_e32 v78, v87, v100
	v_mul_f16_e32 v83, 0x3aee, v79
	v_mul_f16_e32 v84, 0xbaee, v80
	v_add_f16_e32 v8, v8, v85
	v_add_f16_e32 v17, v17, v100
	;; [unrolled: 1-line block ×4, first 2 shown]
	v_fmac_f16_e32 v83, 0.5, v80
	v_fmac_f16_e32 v84, 0.5, v79
	v_mul_u32_u24_e32 v21, 0xf0, v72
	v_fmamk_f16 v72, v19, 0x3aee, v96
	v_fmamk_f16 v75, v78, 0xbaee, v10
	v_fmac_f16_e32 v127, 0x3aee, v77
	v_add_f16_e32 v79, v17, v2
	v_add_f16_e32 v80, v8, v9
	;; [unrolled: 1-line block ×4, first 2 shown]
	v_fmac_f16_e32 v6, 0xbaee, v74
	v_fmac_f16_e32 v14, v16, v76
	v_mul_f16_e32 v16, -0.5, v127
	v_add3_u32 v21, 0, v21, v73
	v_pack_b32_f16 v73, v79, v80
	v_pack_b32_f16 v74, v85, v87
	v_fmac_f16_e32 v10, 0x3aee, v78
	v_fmac_f16_e32 v16, 0xbaee, v6
	v_fma_f16 v5, v5, v76, -v7
	v_mul_f16_e32 v7, -0.5, v6
	ds_store_2addr_b32 v21, v73, v74 offset1:10
	v_fmac_f16_e32 v96, 0xbaee, v19
	v_sub_f16_e32 v6, v72, v83
	v_add_f16_e32 v19, v10, v16
	v_add_f16_e32 v72, v92, v12
	v_lshrrev_b32_e32 v73, 16, v97
	v_sub_f16_e32 v10, v10, v16
	v_add_f16_e32 v16, v112, v115
	v_add_f16_e32 v74, v97, v92
	v_sub_f16_e32 v8, v8, v9
	v_sub_f16_e32 v9, v75, v84
	v_fmac_f16_e32 v97, -0.5, v72
	v_add_f16_e32 v72, v73, v112
	v_sub_f16_e32 v75, v112, v115
	v_fmac_f16_e32 v73, -0.5, v16
	v_add_f16_e32 v16, v74, v12
	v_add_f16_e32 v74, v89, v3
	v_add_f16_e32 v77, v111, v11
	v_sub_f16_e32 v12, v92, v12
	v_fmamk_f16 v76, v75, 0x3aee, v97
	v_fmac_f16_e32 v97, 0xbaee, v75
	v_add_f16_e32 v75, v90, v89
	v_fmac_f16_e32 v90, -0.5, v74
	v_add_f16_e32 v74, v101, v111
	v_fmac_f16_e32 v101, -0.5, v77
	v_sub_f16_e32 v77, v89, v3
	v_sub_f16_e32 v78, v111, v11
	v_fmamk_f16 v79, v12, 0xbaee, v73
	v_fmac_f16_e32 v73, 0x3aee, v12
	v_add_f16_e32 v3, v75, v3
	v_fmamk_f16 v12, v77, 0xbaee, v101
	v_fmamk_f16 v80, v78, 0x3aee, v90
	v_fmac_f16_e32 v90, 0xbaee, v78
	v_fmac_f16_e32 v101, 0x3aee, v77
	v_add_f16_e32 v72, v72, v115
	v_mul_f16_e32 v75, 0x3aee, v12
	v_mul_f16_e32 v77, 0xbaee, v80
	v_mul_f16_e32 v78, -0.5, v90
	v_mul_f16_e32 v83, -0.5, v101
	v_add_f16_e32 v11, v74, v11
	v_fmac_f16_e32 v75, 0.5, v80
	v_fmac_f16_e32 v77, 0.5, v12
	v_fmac_f16_e32 v78, 0x3aee, v101
	v_fmac_f16_e32 v83, 0xbaee, v90
	v_add_f16_e32 v80, v110, v113
	v_lshrrev_b32_e32 v84, 16, v95
	v_add_f16_e32 v12, v16, v3
	v_sub_f16_e32 v3, v16, v3
	v_add_f16_e32 v16, v76, v75
	v_sub_f16_e32 v74, v76, v75
	;; [unrolled: 2-line block ×6, first 2 shown]
	v_add_f16_e32 v83, v13, v109
	v_add_f16_e32 v85, v95, v110
	v_fmac_f16_e32 v95, -0.5, v80
	v_add_f16_e32 v80, v84, v13
	v_sub_f16_e32 v13, v13, v109
	v_add_f16_e32 v87, v20, v4
	v_add_f16_e32 v89, v18, v15
	v_fmac_f16_e32 v7, 0x3aee, v127
	v_fmac_f16_e32 v84, -0.5, v83
	v_add_f16_e32 v83, v85, v113
	v_sub_f16_e32 v85, v110, v113
	v_fmamk_f16 v88, v13, 0x3aee, v95
	v_fmac_f16_e32 v95, 0xbaee, v13
	v_add_f16_e32 v13, v106, v20
	v_fmac_f16_e32 v106, -0.5, v87
	v_add_f16_e32 v87, v91, v18
	v_fmac_f16_e32 v91, -0.5, v89
	v_sub_f16_e32 v20, v20, v4
	v_sub_f16_e32 v18, v18, v15
	;; [unrolled: 1-line block ×3, first 2 shown]
	v_add_f16_e32 v17, v96, v7
	v_fmamk_f16 v89, v85, 0xbaee, v84
	v_fmac_f16_e32 v84, 0x3aee, v85
	v_fmamk_f16 v85, v20, 0xbaee, v91
	v_fmamk_f16 v90, v18, 0x3aee, v106
	v_fmac_f16_e32 v91, 0x3aee, v20
	v_add_f16_e32 v80, v80, v109
	v_fmac_f16_e32 v106, 0xbaee, v18
	v_add_f16_e32 v4, v13, v4
	v_mul_f16_e32 v13, 0x3aee, v85
	v_mul_f16_e32 v18, 0xbaee, v90
	v_mul_f16_e32 v92, -0.5, v91
	v_add_f16_e32 v15, v87, v15
	v_pack_b32_f16 v17, v17, v19
	v_pack_b32_f16 v2, v2, v8
	v_fmac_f16_e32 v13, 0.5, v90
	v_fmac_f16_e32 v18, 0.5, v85
	v_fmac_f16_e32 v92, 0xbaee, v106
	v_add_f16_e32 v8, v80, v15
	v_sub_f16_e32 v15, v80, v15
	ds_store_2addr_b32 v21, v17, v2 offset0:20 offset1:30
	v_add_f16_e64 v2, v99, v128
	v_lshrrev_b32_e32 v80, 16, v81
	v_mul_f16_e32 v20, -0.5, v106
	v_add_f16_e32 v85, v83, v4
	v_sub_f16_e32 v4, v83, v4
	v_add_f16_e32 v83, v88, v13
	v_sub_f16_e32 v13, v88, v13
	;; [unrolled: 2-line block ×4, first 2 shown]
	v_add_f16_e32 v88, v82, v120
	v_add_f16_e32 v89, v81, v99
	v_fmac_f16_e32 v81, -0.5, v2
	v_add_f16_e32 v2, v80, v82
	v_sub_f16_e32 v82, v82, v120
	v_add_f16_e32 v90, v124, v5
	v_add_f16_e32 v92, v118, v14
	v_fmac_f16_e32 v20, 0x3aee, v91
	v_fmac_f16_e32 v80, -0.5, v88
	v_add_f16_e64 v88, v89, v128
	v_sub_f16_e64 v89, v99, v128
	v_fmamk_f16 v91, v82, 0x3aee, v81
	v_fmac_f16_e32 v81, 0xbaee, v82
	v_add_f16_e32 v82, v119, v124
	v_fmac_f16_e32 v119, -0.5, v90
	v_add_f16_e32 v90, v86, v118
	v_fmac_f16_e32 v86, -0.5, v92
	v_sub_f16_e32 v92, v124, v5
	v_sub_f16_e32 v93, v118, v14
	;; [unrolled: 1-line block ×3, first 2 shown]
	v_add_f16_e32 v87, v95, v20
	v_sub_f16_e32 v20, v95, v20
	v_fmamk_f16 v94, v89, 0xbaee, v80
	v_fmac_f16_e32 v80, 0x3aee, v89
	v_fmamk_f16 v89, v92, 0xbaee, v86
	v_fmamk_f16 v95, v93, 0x3aee, v119
	v_fmac_f16_e32 v119, 0xbaee, v93
	v_fmac_f16_e32 v86, 0x3aee, v92
	v_pack_b32_f16 v6, v6, v9
	v_pack_b32_f16 v7, v7, v10
	v_add_f16_e32 v5, v82, v5
	v_mul_f16_e32 v82, 0x3aee, v89
	v_mul_f16_e32 v92, 0xbaee, v95
	v_add3_u32 v9, 0, v66, v67
	v_pack_b32_f16 v10, v12, v78
	v_pack_b32_f16 v12, v16, v72
	v_mul_f16_e32 v93, -0.5, v119
	v_mul_f16_e32 v96, -0.5, v86
	v_pack_b32_f16 v16, v75, v79
	v_pack_b32_f16 v3, v3, v11
	ds_store_2addr_b32 v21, v6, v7 offset0:40 offset1:50
	v_mul_u32_u24_e32 v6, 0xf0, v68
	v_lshlrev_b32_e32 v7, 2, v69
	v_add_f16_e32 v2, v2, v120
	v_add_f16_e32 v14, v90, v14
	v_fmac_f16_e32 v82, 0.5, v95
	v_fmac_f16_e32 v92, 0.5, v89
	ds_store_2addr_b32 v9, v10, v12 offset1:10
	ds_store_2addr_b32 v9, v16, v3 offset0:20 offset1:30
	v_pack_b32_f16 v3, v74, v77
	v_pack_b32_f16 v10, v76, v73
	v_fmac_f16_e32 v93, 0x3aee, v86
	v_fmac_f16_e32 v96, 0xbaee, v119
	v_add3_u32 v6, 0, v6, v7
	v_pack_b32_f16 v7, v85, v8
	v_pack_b32_f16 v8, v83, v19
	v_add_f16_e32 v86, v88, v5
	v_sub_f16_e32 v5, v88, v5
	v_add_f16_e32 v88, v91, v82
	v_add_f16_e32 v90, v2, v14
	v_sub_f16_e32 v2, v2, v14
	v_add_f16_e32 v14, v94, v92
	v_pack_b32_f16 v11, v87, v17
	v_pack_b32_f16 v4, v4, v15
	ds_store_2addr_b32 v9, v3, v10 offset0:40 offset1:50
	v_mul_u32_u24_e32 v3, 0xf0, v70
	v_lshlrev_b32_e32 v9, 2, v71
	v_sub_f16_e32 v82, v91, v82
	v_add_f16_e32 v89, v81, v93
	v_sub_f16_e32 v91, v94, v92
	v_add_f16_e32 v92, v80, v96
	v_sub_f16_e32 v81, v81, v93
	v_sub_f16_e32 v80, v80, v96
	ds_store_2addr_b32 v6, v7, v8 offset1:10
	ds_store_2addr_b32 v6, v11, v4 offset0:20 offset1:30
	v_pack_b32_f16 v4, v13, v18
	v_pack_b32_f16 v7, v20, v84
	v_add3_u32 v3, 0, v3, v9
	v_pack_b32_f16 v8, v86, v90
	v_pack_b32_f16 v9, v88, v14
	;; [unrolled: 1-line block ×6, first 2 shown]
	ds_store_2addr_b32 v6, v4, v7 offset0:40 offset1:50
	ds_store_2addr_b32 v3, v8, v9 offset1:10
	ds_store_2addr_b32 v3, v10, v2 offset0:20 offset1:30
	ds_store_2addr_b32 v3, v5, v11 offset0:40 offset1:50
	v_and_b32_e32 v3, 0xffff, v38
	v_and_b32_e32 v12, 0xffff, v42
	;; [unrolled: 1-line block ×4, first 2 shown]
	v_mul_lo_u16 v9, 0x89, v0
	v_mul_u32_u24_e32 v15, 0x8889, v3
	v_and_b32_e32 v3, 0xffff, v30
	v_mul_u32_u24_e32 v16, 0x8889, v12
	v_mul_u32_u24_e32 v11, 0x8889, v5
	;; [unrolled: 1-line block ×3, first 2 shown]
	v_lshrrev_b16 v21, 13, v9
	v_mul_u32_u24_e32 v12, 0x8889, v3
	v_and_b32_e32 v3, 0xffff, v32
	v_lshrrev_b32_e32 v5, 21, v11
	v_lshrrev_b32_e32 v69, 21, v14
	v_mul_lo_u16 v66, v21, 60
	v_lshrrev_b32_e32 v6, 21, v12
	v_mul_u32_u24_e32 v13, 0x8889, v3
	v_and_b32_e32 v3, 0xffff, v34
	v_mul_lo_u16 v10, v5, 60
	v_and_b32_e32 v2, 0xffff, v40
	v_mul_lo_u16 v8, v6, 60
	v_lshrrev_b32_e32 v76, 21, v13
	v_mul_u32_u24_e32 v18, 0x8889, v3
	v_sub_nc_u16 v9, v28, v10
	v_mul_lo_u16 v3, v69, 60
	v_sub_nc_u16 v8, v30, v8
	v_mul_lo_u16 v10, v76, 60
	v_lshrrev_b32_e32 v77, 21, v18
	v_and_b32_e32 v9, 0xffff, v9
	v_sub_nc_u16 v66, v0, v66
	v_and_b32_e32 v8, 0xffff, v8
	v_sub_nc_u16 v10, v32, v10
	v_mul_lo_u16 v67, v77, 60
	v_mul_u32_u24_e32 v17, 0x8889, v2
	v_lshrrev_b32_e32 v19, 21, v15
	v_sub_nc_u16 v3, v36, v3
	v_lshlrev_b32_e32 v78, 2, v8
	v_lshlrev_b32_e32 v79, 2, v9
	v_and_b32_e32 v8, 0xff, v66
	v_and_b32_e32 v9, 0xffff, v10
	v_sub_nc_u16 v10, v34, v67
	v_lshrrev_b32_e32 v20, 21, v17
	v_mul_lo_u16 v7, v19, 60
	v_and_b32_e32 v3, 0xffff, v3
	v_lshlrev_b32_e32 v81, 2, v8
	v_and_b32_e32 v8, 0xffff, v10
	v_lshrrev_b32_e32 v4, 21, v16
	v_lshlrev_b32_e32 v82, 2, v9
	v_lshlrev_b32_e32 v80, 2, v3
	v_sub_nc_u16 v3, v38, v7
	v_mul_lo_u16 v7, v20, 60
	v_lshlrev_b32_e32 v84, 2, v8
	v_and_b32_e32 v8, 0xffff, v46
	v_and_b32_e32 v9, 0xffff, v44
	v_and_b32_e32 v3, 0xffff, v3
	v_sub_nc_u16 v10, v40, v7
	v_mul_lo_u16 v2, v4, 60
	v_mul_u32_u24_e32 v8, 0x8889, v8
	v_mul_u32_u24_e32 v7, 0x8889, v9
	v_lshlrev_b32_e32 v85, 2, v3
	v_and_b32_e32 v3, 0xffff, v10
	global_wb scope:SCOPE_SE
	s_wait_dscnt 0x0
	v_lshrrev_b32_e32 v89, 21, v8
	s_barrier_signal -1
	s_barrier_wait -1
	global_inv scope:SCOPE_SE
	global_load_b32 v68, v79, s[4:5] offset:200
	v_sub_nc_u16 v2, v42, v2
	v_lshrrev_b32_e32 v86, 21, v7
	v_mul_u32_u24_e32 v9, 0x8889, v65
	v_mul_u32_u24_e32 v10, 0x8889, v64
	v_lshlrev_b32_e32 v90, 2, v3
	v_mul_lo_u16 v3, v89, 60
	s_clause 0x2
	global_load_b32 v83, v81, s[4:5] offset:200
	global_load_b32 v74, v78, s[4:5] offset:200
	global_load_b32 v75, v82, s[4:5] offset:200
	v_and_b32_e32 v2, 0xffff, v2
	v_mul_lo_u16 v65, v86, 60
	v_lshrrev_b32_e32 v91, 21, v9
	v_lshrrev_b32_e32 v92, 21, v10
	v_sub_nc_u16 v3, v46, v3
	v_lshlrev_b32_e32 v93, 2, v2
	v_mul_u32_u24_e32 v2, 0x8889, v63
	v_sub_nc_u16 v64, v44, v65
	v_mul_lo_u16 v65, v91, 60
	v_mul_lo_u16 v66, v92, 60
	v_and_b32_e32 v63, 0xffff, v3
	v_mul_lo_u16 v3, 0x89, v62
	s_clause 0x1
	global_load_b32 v87, v80, s[4:5] offset:200
	global_load_b32 v88, v84, s[4:5] offset:200
	v_lshrrev_b32_e32 v95, 21, v2
	v_and_b32_e32 v64, 0xffff, v64
	v_sub_nc_u16 v65, v48, v65
	v_sub_nc_u16 v62, v50, v66
	v_lshrrev_b16 v98, 13, v3
	v_lshlrev_b32_e32 v97, 2, v63
	v_mul_lo_u16 v63, v95, 60
	v_lshlrev_b32_e32 v94, 2, v64
	v_and_b32_e32 v64, 0xffff, v65
	v_and_b32_e32 v62, 0xffff, v62
	v_mul_lo_u16 v65, v98, 60
	s_clause 0x4
	global_load_b32 v96, v85, s[4:5] offset:200
	global_load_b32 v99, v90, s[4:5] offset:200
	;; [unrolled: 1-line block ×5, first 2 shown]
	v_sub_nc_u16 v63, v26, v63
	v_lshlrev_b32_e32 v103, 2, v62
	v_sub_nc_u16 v62, v24, v65
	v_lshlrev_b32_e32 v102, 2, v64
	v_and_b32_e32 v21, 0xffff, v21
	v_and_b32_e32 v63, 0xffff, v63
	global_load_b32 v106, v103, s[4:5] offset:200
	v_and_b32_e32 v62, 0xff, v62
	global_load_b32 v105, v102, s[4:5] offset:200
	v_mul_u32_u24_e32 v21, 0x1e0, v21
	v_lshlrev_b32_e32 v107, 2, v63
	v_and_b32_e32 v98, 0xffff, v98
	v_lshlrev_b32_e32 v108, 2, v62
	s_clause 0x1
	global_load_b32 v109, v107, s[4:5] offset:200
	global_load_b32 v110, v108, s[4:5] offset:200
	ds_load_2addr_stride64_b32 v[62:63], v53 offset0:56 offset1:58
	ds_load_2addr_stride64_b32 v[64:65], v53 offset0:52 offset1:54
	;; [unrolled: 1-line block ×4, first 2 shown]
	v_add3_u32 v81, 0, v21, v81
	v_lshl_add_u32 v21, v28, 2, 0
	v_mul_u32_u24_e32 v98, 0x1e0, v98
	v_mul_u32_u24_e32 v95, 0x1e0, v95
	;; [unrolled: 1-line block ×5, first 2 shown]
	v_add3_u32 v98, 0, v98, v108
	v_mul_u32_u24_e32 v76, 0x1e0, v76
	v_mul_u32_u24_e32 v6, 0x1e0, v6
	;; [unrolled: 1-line block ×3, first 2 shown]
	v_add3_u32 v95, 0, v95, v107
	v_add3_u32 v92, 0, v92, v103
	v_add3_u32 v91, 0, v91, v102
	v_add3_u32 v69, 0, v69, v80
	v_add3_u32 v76, 0, v76, v82
	v_add3_u32 v6, 0, v6, v78
	v_add3_u32 v5, 0, v5, v79
	v_mul_u32_u24_e32 v20, 0x1e0, v20
	v_mul_u32_u24_e32 v4, 0x1e0, v4
	;; [unrolled: 1-line block ×4, first 2 shown]
	s_delay_alu instid0(VALU_DEP_4) | instskip(NEXT) | instid1(VALU_DEP_4)
	v_add3_u32 v20, 0, v20, v90
	v_add3_u32 v4, 0, v4, v93
	s_delay_alu instid0(VALU_DEP_4) | instskip(NEXT) | instid1(VALU_DEP_4)
	v_add3_u32 v19, 0, v19, v85
	v_add3_u32 v77, 0, v77, v84
	s_wait_loadcnt_dscnt 0xe03
	v_pk_mul_f16 v72, v63, v68 op_sel:[0,1]
	s_delay_alu instid0(VALU_DEP_1)
	v_pk_fma_f16 v112, v63, v68, v72 op_sel:[0,0,1] op_sel_hi:[1,1,0] neg_lo:[0,0,1] neg_hi:[0,0,1]
	s_wait_loadcnt 0xc
	v_pk_mul_f16 v111, v62, v74 op_sel:[0,1]
	v_pk_fma_f16 v113, v63, v68, v72 op_sel:[0,0,1] op_sel_hi:[1,0,0]
	s_wait_loadcnt_dscnt 0xb02
	v_pk_mul_f16 v63, v65, v75 op_sel:[0,1]
	ds_load_2addr_stride64_b32 v[72:73], v53 offset0:40 offset1:42
	v_pk_fma_f16 v114, v62, v74, v111 op_sel:[0,0,1] op_sel_hi:[1,1,0] neg_lo:[0,0,1] neg_hi:[0,0,1]
	v_pk_fma_f16 v111, v62, v74, v111 op_sel:[0,0,1] op_sel_hi:[1,0,0]
	v_pk_fma_f16 v115, v65, v75, v63 op_sel:[0,0,1] op_sel_hi:[1,1,0] neg_lo:[0,0,1] neg_hi:[0,0,1]
	v_pk_fma_f16 v116, v65, v75, v63 op_sel:[0,0,1] op_sel_hi:[1,0,0]
	ds_load_2addr_stride64_b32 v[62:63], v53 offset0:36 offset1:38
	ds_load_2addr_stride64_b32 v[74:75], v53 offset1:30
	v_bfi_b32 v78, 0xffff, v112, v113
	v_bfi_b32 v79, 0xffff, v114, v111
	s_wait_loadcnt 0xa
	v_pk_mul_f16 v68, v64, v87 op_sel:[0,1]
	s_wait_loadcnt_dscnt 0x904
	v_pk_mul_f16 v65, v67, v88 op_sel:[0,1]
	v_bfi_b32 v80, 0xffff, v115, v116
	s_delay_alu instid0(VALU_DEP_3) | instskip(SKIP_1) | instid1(VALU_DEP_4)
	v_pk_fma_f16 v117, v64, v87, v68 op_sel:[0,0,1] op_sel_hi:[1,1,0] neg_lo:[0,0,1] neg_hi:[0,0,1]
	v_pk_fma_f16 v87, v64, v87, v68 op_sel:[0,0,1] op_sel_hi:[1,0,0]
	v_pk_fma_f16 v119, v67, v88, v65 op_sel:[0,0,1] op_sel_hi:[1,1,0] neg_lo:[0,0,1] neg_hi:[0,0,1]
	v_pk_fma_f16 v88, v67, v88, v65 op_sel:[0,0,1] op_sel_hi:[1,0,0]
	ds_load_2addr_stride64_b32 v[64:65], v53 offset0:32 offset1:34
	ds_load_b32 v123, v60
	ds_load_b32 v124, v61
	s_wait_loadcnt 0x8
	v_pk_mul_f16 v118, v66, v96 op_sel:[0,1]
	s_wait_loadcnt_dscnt 0x706
	v_pk_mul_f16 v67, v71, v99 op_sel:[0,1]
	s_wait_loadcnt 0x6
	v_pk_mul_f16 v68, v70, v100 op_sel:[0,1]
	v_bfi_b32 v82, 0xffff, v119, v88
	v_pk_fma_f16 v120, v66, v96, v118 op_sel:[0,0,1] op_sel_hi:[1,1,0] neg_lo:[0,0,1] neg_hi:[0,0,1]
	v_pk_fma_f16 v96, v66, v96, v118 op_sel:[0,0,1] op_sel_hi:[1,0,0]
	v_pk_fma_f16 v118, v71, v99, v67 op_sel:[0,0,1] op_sel_hi:[1,1,0] neg_lo:[0,0,1] neg_hi:[0,0,1]
	s_wait_loadcnt_dscnt 0x505
	v_pk_mul_f16 v66, v73, v101 op_sel:[0,1]
	v_pk_fma_f16 v71, v71, v99, v67 op_sel:[0,0,1] op_sel_hi:[1,0,0]
	v_pk_fma_f16 v99, v70, v100, v68 op_sel:[0,0,1] op_sel_hi:[1,1,0] neg_lo:[0,0,1] neg_hi:[0,0,1]
	v_pk_fma_f16 v70, v70, v100, v68 op_sel:[0,0,1] op_sel_hi:[1,0,0]
	s_wait_loadcnt 0x4
	v_pk_mul_f16 v67, v72, v104 op_sel:[0,1]
	s_wait_dscnt 0x3
	v_pk_mul_f16 v68, v83, v75 op_sel:[0,1]
	v_pk_fma_f16 v100, v73, v101, v66 op_sel:[0,0,1] op_sel_hi:[1,1,0] neg_lo:[0,0,1] neg_hi:[0,0,1]
	v_pk_fma_f16 v73, v73, v101, v66 op_sel:[0,0,1] op_sel_hi:[1,0,0]
	s_wait_loadcnt 0x2
	v_pk_mul_f16 v66, v63, v105 op_sel:[0,1]
	v_pk_fma_f16 v101, v72, v104, v67 op_sel:[0,0,1] op_sel_hi:[1,1,0] neg_lo:[0,0,1] neg_hi:[0,0,1]
	v_pk_fma_f16 v72, v72, v104, v67 op_sel:[0,0,1] op_sel_hi:[1,0,0]
	v_pk_mul_f16 v67, v62, v106 op_sel:[0,1]
	v_pk_fma_f16 v121, v83, v75, v68 op_sel:[0,0,1] op_sel_hi:[1,1,0] neg_lo:[0,0,1] neg_hi:[0,0,1]
	v_pk_fma_f16 v68, v83, v75, v68 op_sel:[0,0,1] op_sel_hi:[1,0,0]
	v_pk_fma_f16 v104, v63, v105, v66 op_sel:[0,0,1] op_sel_hi:[1,1,0] neg_lo:[0,0,1] neg_hi:[0,0,1]
	v_pk_fma_f16 v75, v63, v105, v66 op_sel:[0,0,1] op_sel_hi:[1,0,0]
	;; [unrolled: 2-line block ×3, first 2 shown]
	v_bfi_b32 v66, 0xffff, v121, v68
	s_wait_loadcnt_dscnt 0x2
	v_pk_mul_f16 v62, v110, v64 op_sel:[0,1]
	v_pk_mul_f16 v63, v65, v109 op_sel:[0,1]
	v_lshl_add_u32 v68, v44, 2, 0
	v_lshl_add_u32 v67, v42, 2, 0
	v_pk_add_f16 v121, v74, v66 neg_lo:[0,1] neg_hi:[0,1]
	v_pk_fma_f16 v122, v110, v64, v62 op_sel:[0,0,1] op_sel_hi:[1,1,0] neg_lo:[0,0,1] neg_hi:[0,0,1]
	v_pk_fma_f16 v110, v110, v64, v62 op_sel:[0,0,1] op_sel_hi:[1,0,0]
	v_lshl_add_u32 v66, v40, 2, 0
	v_lshl_add_u32 v64, v36, 2, 0
	v_pk_fma_f16 v106, v65, v109, v63 op_sel:[0,0,1] op_sel_hi:[1,1,0] neg_lo:[0,0,1] neg_hi:[0,0,1]
	v_pk_fma_f16 v109, v65, v109, v63 op_sel:[0,0,1] op_sel_hi:[1,0,0]
	v_lshl_add_u32 v65, v38, 2, 0
	v_lshl_add_u32 v63, v32, 2, 0
	ds_load_b32 v125, v59
	ds_load_b32 v126, v68
	;; [unrolled: 1-line block ×5, first 2 shown]
	v_lshl_add_u32 v62, v30, 2, 0
	ds_load_b32 v130, v57
	ds_load_b32 v131, v58
	;; [unrolled: 1-line block ×7, first 2 shown]
	v_bfi_b32 v110, 0xffff, v122, v110
	v_bfi_b32 v106, 0xffff, v106, v109
	;; [unrolled: 1-line block ×4, first 2 shown]
	v_pk_fma_f16 v74, v74, 2.0, v121 op_sel_hi:[1,0,1] neg_lo:[0,0,1] neg_hi:[0,0,1]
	s_wait_dscnt 0xd
	v_pk_add_f16 v110, v123, v110 neg_lo:[0,1] neg_hi:[0,1]
	s_wait_dscnt 0xc
	v_pk_add_f16 v104, v124, v106 neg_lo:[0,1] neg_hi:[0,1]
	v_bfi_b32 v72, 0xffff, v101, v72
	v_bfi_b32 v73, 0xffff, v100, v73
	;; [unrolled: 1-line block ×3, first 2 shown]
	v_pk_fma_f16 v108, v123, 2.0, v110 op_sel_hi:[1,0,1] neg_lo:[0,0,1] neg_hi:[0,0,1]
	v_pk_fma_f16 v105, v124, 2.0, v104 op_sel_hi:[1,0,1] neg_lo:[0,0,1] neg_hi:[0,0,1]
	v_bfi_b32 v71, 0xffff, v118, v71
	s_wait_dscnt 0x6
	v_pk_add_f16 v75, v130, v75 neg_lo:[0,1] neg_hi:[0,1]
	s_wait_dscnt 0x5
	v_pk_add_f16 v83, v131, v83 neg_lo:[0,1] neg_hi:[0,1]
	global_wb scope:SCOPE_SE
	s_wait_dscnt 0x0
	s_barrier_signal -1
	s_barrier_wait -1
	v_pk_fma_f16 v102, v130, 2.0, v75 op_sel_hi:[1,0,1] neg_lo:[0,0,1] neg_hi:[0,0,1]
	v_pk_fma_f16 v103, v131, 2.0, v83 op_sel_hi:[1,0,1] neg_lo:[0,0,1] neg_hi:[0,0,1]
	global_inv scope:SCOPE_SE
	ds_store_2addr_b32 v81, v74, v121 offset1:60
	ds_store_2addr_b32 v98, v108, v110 offset1:60
	;; [unrolled: 1-line block ×5, first 2 shown]
	v_bfi_b32 v83, 0xffff, v120, v96
	v_mul_u32_u24_e32 v74, 0x1e0, v89
	v_bfi_b32 v81, 0xffff, v117, v87
	v_pk_add_f16 v72, v125, v72 neg_lo:[0,1] neg_hi:[0,1]
	v_mul_u32_u24_e32 v75, 0x1e0, v86
	v_pk_add_f16 v73, v126, v73 neg_lo:[0,1] neg_hi:[0,1]
	v_pk_add_f16 v70, v127, v70 neg_lo:[0,1] neg_hi:[0,1]
	;; [unrolled: 1-line block ×4, first 2 shown]
	v_add3_u32 v74, 0, v74, v97
	v_pk_add_f16 v78, v136, v78 neg_lo:[0,1] neg_hi:[0,1]
	v_pk_add_f16 v79, v135, v79 neg_lo:[0,1] neg_hi:[0,1]
	;; [unrolled: 1-line block ×5, first 2 shown]
	v_pk_fma_f16 v89, v125, 2.0, v72 op_sel_hi:[1,0,1] neg_lo:[0,0,1] neg_hi:[0,0,1]
	v_add3_u32 v75, 0, v75, v94
	v_pk_fma_f16 v90, v126, 2.0, v73 op_sel_hi:[1,0,1] neg_lo:[0,0,1] neg_hi:[0,0,1]
	v_pk_fma_f16 v91, v127, 2.0, v70 op_sel_hi:[1,0,1] neg_lo:[0,0,1] neg_hi:[0,0,1]
	;; [unrolled: 1-line block ×9, first 2 shown]
	ds_store_2addr_b32 v74, v89, v72 offset1:60
	ds_store_2addr_b32 v75, v90, v73 offset1:60
	;; [unrolled: 1-line block ×10, first 2 shown]
	v_lshrrev_b32_e32 v4, 22, v12
	v_lshrrev_b32_e32 v19, 22, v11
	v_lshrrev_b32_e32 v20, 22, v13
	v_lshrrev_b32_e32 v69, 22, v14
	v_lshrrev_b32_e32 v72, 22, v15
	v_mul_lo_u16 v5, 0x78, v4
	v_mul_lo_u16 v6, 0x78, v19
	;; [unrolled: 1-line block ×4, first 2 shown]
	v_lshrrev_b32_e32 v73, 22, v18
	v_sub_nc_u16 v5, v30, v5
	v_sub_nc_u16 v6, v28, v6
	;; [unrolled: 1-line block ×3, first 2 shown]
	v_mul_lo_u16 v74, 0x78, v72
	v_sub_nc_u16 v76, v36, v71
	v_and_b32_e32 v5, 0xffff, v5
	v_and_b32_e32 v6, 0xffff, v6
	v_lshrrev_b16 v84, 14, v3
	v_lshrrev_b32_e32 v87, 22, v17
	v_lshrrev_b32_e32 v88, 22, v16
	v_lshlrev_b32_e32 v70, 2, v5
	v_mul_lo_u16 v5, 0x78, v73
	v_lshlrev_b32_e32 v71, 2, v6
	v_and_b32_e32 v6, 0xffff, v75
	v_lshrrev_b32_e32 v90, 22, v7
	v_lshrrev_b32_e32 v92, 22, v8
	v_sub_nc_u16 v3, v34, v5
	v_sub_nc_u16 v5, v38, v74
	v_lshlrev_b32_e32 v85, 2, v6
	v_mul_lo_u16 v6, 0x78, v84
	v_mul_lo_u16 v74, 0x78, v87
	v_and_b32_e32 v3, 0xffff, v3
	v_and_b32_e32 v5, 0xffff, v5
	global_wb scope:SCOPE_SE
	s_wait_dscnt 0x0
	v_sub_nc_u16 v6, v24, v6
	s_barrier_signal -1
	v_lshlrev_b32_e32 v89, 2, v3
	v_lshlrev_b32_e32 v91, 2, v5
	v_mul_lo_u16 v5, 0x78, v88
	v_and_b32_e32 v3, 0xff, v6
	v_mul_lo_u16 v6, 0x78, v90
	s_barrier_wait -1
	global_inv scope:SCOPE_SE
	v_sub_nc_u16 v5, v42, v5
	v_lshlrev_b32_e32 v93, 2, v3
	v_sub_nc_u16 v3, v40, v74
	v_mul_lo_u16 v74, 0x78, v92
	v_and_b32_e32 v75, 0xffff, v76
	global_load_b32 v80, v71, s[4:5] offset:440
	v_sub_nc_u16 v6, v44, v6
	v_and_b32_e32 v3, 0xffff, v3
	v_and_b32_e32 v5, 0xffff, v5
	v_sub_nc_u16 v74, v46, v74
	v_lshrrev_b32_e32 v97, 22, v9
	v_lshlrev_b32_e32 v86, 2, v75
	s_clause 0x4
	global_load_b32 v94, v93, s[4:5] offset:440
	global_load_b32 v82, v70, s[4:5] offset:440
	;; [unrolled: 1-line block ×5, first 2 shown]
	v_lshrrev_b32_e32 v101, 22, v10
	v_and_b32_e32 v6, 0xffff, v6
	v_lshlrev_b32_e32 v98, 2, v3
	v_lshlrev_b32_e32 v99, 2, v5
	v_and_b32_e32 v3, 0xffff, v74
	v_mul_lo_u16 v5, 0x78, v97
	v_lshrrev_b32_e32 v102, 22, v2
	v_add_nc_u32_e32 v2, 0xffffff88, v0
	v_mul_lo_u16 v74, 0x78, v101
	v_lshlrev_b32_e32 v100, 2, v6
	v_lshlrev_b32_e32 v103, 2, v3
	v_sub_nc_u16 v3, v48, v5
	v_mul_lo_u16 v75, 0x78, v102
	s_wait_alu 0xf1ff
	v_cndmask_b32_e64 v5, v2, v0, s0
	v_mov_b32_e32 v6, 0
	v_sub_nc_u16 v74, v50, v74
	v_and_b32_e32 v76, 0xffff, v3
	v_sub_nc_u16 v75, v26, v75
	global_load_b32 v104, v91, s[4:5] offset:440
	v_lshlrev_b64_e32 v[2:3], 2, v[5:6]
	v_and_b32_e32 v74, 0xffff, v74
	s_clause 0x3
	global_load_b32 v105, v98, s[4:5] offset:440
	global_load_b32 v106, v99, s[4:5] offset:440
	;; [unrolled: 1-line block ×4, first 2 shown]
	v_and_b32_e32 v75, 0xffff, v75
	v_lshlrev_b32_e32 v109, 2, v76
	v_lshlrev_b32_e32 v5, 2, v5
	v_add_co_u32 v2, s0, s4, v2
	s_wait_alu 0xf1ff
	v_add_co_ci_u32_e64 v3, s0, s5, v3, s0
	v_lshlrev_b32_e32 v111, 2, v74
	v_lshlrev_b32_e32 v112, 2, v75
	s_clause 0x3
	global_load_b32 v110, v109, s[4:5] offset:440
	global_load_b32 v113, v[2:3], off offset:440
	global_load_b32 v114, v111, s[4:5] offset:440
	global_load_b32 v115, v112, s[4:5] offset:440
	ds_load_2addr_stride64_b32 v[2:3], v53 offset0:56 offset1:58
	ds_load_2addr_stride64_b32 v[74:75], v53 offset0:52 offset1:54
	;; [unrolled: 1-line block ×4, first 2 shown]
	v_cmp_lt_u32_e64 s0, 0x77, v0
	v_and_b32_e32 v84, 0xffff, v84
	v_mul_u32_u24_e32 v102, 0x3c0, v102
	v_mul_u32_u24_e32 v101, 0x3c0, v101
	;; [unrolled: 1-line block ×6, first 2 shown]
	v_add3_u32 v101, 0, v101, v111
	v_add3_u32 v97, 0, v97, v109
	v_mul_u32_u24_e32 v4, 0x3c0, v4
	v_add3_u32 v84, 0, v84, v93
	v_mul_u32_u24_e32 v72, 0x3c0, v72
	v_add3_u32 v19, 0, v19, v71
	v_add3_u32 v73, 0, v73, v89
	;; [unrolled: 1-line block ×3, first 2 shown]
	v_mul_u32_u24_e32 v69, 0x3c0, v69
	v_add3_u32 v72, 0, v72, v91
	v_mul_u32_u24_e32 v20, 0x3c0, v20
	v_lshrrev_b32_e32 v10, 23, v10
	v_lshrrev_b32_e32 v9, 23, v9
	v_add3_u32 v69, 0, v69, v86
	v_lshrrev_b32_e32 v7, 23, v7
	v_add3_u32 v20, 0, v20, v85
	s_delay_alu instid0(VALU_DEP_2) | instskip(NEXT) | instid1(VALU_DEP_1)
	v_mul_lo_u16 v7, 0xf0, v7
	v_sub_nc_u16 v7, v44, v7
	s_delay_alu instid0(VALU_DEP_1) | instskip(SKIP_4) | instid1(VALU_DEP_2)
	v_and_b32_e32 v7, 0xffff, v7
	s_wait_loadcnt_dscnt 0xe03
	v_pk_mul_f16 v81, v3, v80 op_sel:[0,1]
	s_wait_loadcnt 0xc
	v_pk_mul_f16 v116, v2, v82 op_sel:[0,1]
	v_pk_fma_f16 v117, v3, v80, v81 op_sel:[0,0,1] op_sel_hi:[1,1,0] neg_lo:[0,0,1] neg_hi:[0,0,1]
	v_pk_fma_f16 v118, v3, v80, v81 op_sel:[0,0,1] op_sel_hi:[1,0,0]
	s_wait_loadcnt_dscnt 0xb02
	v_pk_mul_f16 v3, v75, v83 op_sel:[0,1]
	ds_load_2addr_stride64_b32 v[80:81], v53 offset0:40 offset1:42
	v_pk_fma_f16 v119, v2, v82, v116 op_sel:[0,0,1] op_sel_hi:[1,1,0] neg_lo:[0,0,1] neg_hi:[0,0,1]
	s_wait_loadcnt 0xa
	v_pk_mul_f16 v120, v74, v95 op_sel:[0,1]
	v_pk_fma_f16 v116, v2, v82, v116 op_sel:[0,0,1] op_sel_hi:[1,0,0]
	v_pk_fma_f16 v121, v75, v83, v3 op_sel:[0,0,1] op_sel_hi:[1,1,0] neg_lo:[0,0,1] neg_hi:[0,0,1]
	v_pk_fma_f16 v122, v75, v83, v3 op_sel:[0,0,1] op_sel_hi:[1,0,0]
	ds_load_2addr_stride64_b32 v[2:3], v53 offset0:36 offset1:38
	ds_load_2addr_stride64_b32 v[82:83], v53 offset1:30
	v_pk_fma_f16 v124, v74, v95, v120 op_sel:[0,0,1] op_sel_hi:[1,1,0] neg_lo:[0,0,1] neg_hi:[0,0,1]
	v_pk_fma_f16 v95, v74, v95, v120 op_sel:[0,0,1] op_sel_hi:[1,0,0]
	ds_load_2addr_stride64_b32 v[74:75], v53 offset0:32 offset1:34
	s_wait_loadcnt_dscnt 0x905
	v_pk_mul_f16 v123, v77, v96 op_sel:[0,1]
	v_bfi_b32 v71, 0xffff, v119, v116
	v_bfi_b32 v70, 0xffff, v117, v118
	s_delay_alu instid0(VALU_DEP_3)
	v_pk_fma_f16 v125, v77, v96, v123 op_sel:[0,0,1] op_sel_hi:[1,1,0] neg_lo:[0,0,1] neg_hi:[0,0,1]
	v_pk_fma_f16 v77, v77, v96, v123 op_sel:[0,0,1] op_sel_hi:[1,0,0]
	s_wait_loadcnt 0x8
	v_pk_mul_f16 v120, v76, v104 op_sel:[0,1]
	s_wait_loadcnt_dscnt 0x704
	v_pk_mul_f16 v126, v79, v105 op_sel:[0,1]
	s_wait_loadcnt 0x6
	v_pk_mul_f16 v123, v78, v106 op_sel:[0,1]
	v_bfi_b32 v77, 0xffff, v125, v77
	v_pk_fma_f16 v96, v76, v104, v120 op_sel:[0,0,1] op_sel_hi:[1,1,0] neg_lo:[0,0,1] neg_hi:[0,0,1]
	v_pk_fma_f16 v76, v76, v104, v120 op_sel:[0,0,1] op_sel_hi:[1,0,0]
	v_pk_fma_f16 v104, v79, v105, v126 op_sel:[0,0,1] op_sel_hi:[1,1,0] neg_lo:[0,0,1] neg_hi:[0,0,1]
	s_wait_loadcnt_dscnt 0x503
	v_pk_mul_f16 v120, v81, v107 op_sel:[0,1]
	v_pk_fma_f16 v79, v79, v105, v126 op_sel:[0,0,1] op_sel_hi:[1,0,0]
	s_wait_loadcnt 0x4
	v_pk_mul_f16 v126, v80, v108 op_sel:[0,1]
	v_pk_fma_f16 v105, v78, v106, v123 op_sel:[0,0,1] op_sel_hi:[1,1,0] neg_lo:[0,0,1] neg_hi:[0,0,1]
	v_pk_fma_f16 v78, v78, v106, v123 op_sel:[0,0,1] op_sel_hi:[1,0,0]
	v_pk_fma_f16 v106, v81, v107, v120 op_sel:[0,0,1] op_sel_hi:[1,1,0] neg_lo:[0,0,1] neg_hi:[0,0,1]
	s_wait_loadcnt_dscnt 0x302
	v_pk_mul_f16 v123, v3, v110 op_sel:[0,1]
	v_pk_fma_f16 v81, v81, v107, v120 op_sel:[0,0,1] op_sel_hi:[1,0,0]
	v_pk_fma_f16 v107, v80, v108, v126 op_sel:[0,0,1] op_sel_hi:[1,1,0] neg_lo:[0,0,1] neg_hi:[0,0,1]
	s_wait_loadcnt_dscnt 0x201
	v_pk_mul_f16 v120, v113, v83 op_sel:[0,1]
	v_pk_fma_f16 v80, v80, v108, v126 op_sel:[0,0,1] op_sel_hi:[1,0,0]
	s_wait_loadcnt 0x1
	v_pk_mul_f16 v126, v2, v114 op_sel:[0,1]
	v_pk_fma_f16 v108, v3, v110, v123 op_sel:[0,0,1] op_sel_hi:[1,1,0] neg_lo:[0,0,1] neg_hi:[0,0,1]
	s_wait_loadcnt_dscnt 0x0
	v_pk_mul_f16 v127, v115, v75 op_sel:[0,1]
	v_pk_fma_f16 v128, v113, v83, v120 op_sel:[0,0,1] op_sel_hi:[1,1,0] neg_lo:[0,0,1] neg_hi:[0,0,1]
	v_pk_fma_f16 v83, v113, v83, v120 op_sel:[0,0,1] op_sel_hi:[1,0,0]
	v_pk_fma_f16 v3, v3, v110, v123 op_sel:[0,0,1] op_sel_hi:[1,0,0]
	v_pk_fma_f16 v110, v2, v114, v126 op_sel:[0,0,1] op_sel_hi:[1,1,0] neg_lo:[0,0,1] neg_hi:[0,0,1]
	v_pk_fma_f16 v2, v2, v114, v126 op_sel:[0,0,1] op_sel_hi:[1,0,0]
	v_pk_mul_f16 v114, v94, v74 op_sel:[0,1]
	s_wait_alu 0xf1ff
	v_cndmask_b32_e64 v120, 0, 0x3c0, s0
	v_pk_fma_f16 v113, v115, v75, v127 op_sel:[0,0,1] op_sel_hi:[1,1,0] neg_lo:[0,0,1] neg_hi:[0,0,1]
	v_bfi_b32 v83, 0xffff, v128, v83
	v_pk_fma_f16 v75, v115, v75, v127 op_sel:[0,0,1] op_sel_hi:[1,0,0]
	v_pk_fma_f16 v115, v94, v74, v114 op_sel:[0,0,1] op_sel_hi:[1,1,0] neg_lo:[0,0,1] neg_hi:[0,0,1]
	v_pk_fma_f16 v74, v94, v74, v114 op_sel:[0,0,1] op_sel_hi:[1,0,0]
	v_add3_u32 v5, 0, v120, v5
	ds_load_b32 v94, v60
	ds_load_b32 v114, v61
	;; [unrolled: 1-line block ×13, first 2 shown]
	v_bfi_b32 v75, 0xffff, v113, v75
	v_bfi_b32 v2, 0xffff, v110, v2
	;; [unrolled: 1-line block ×4, first 2 shown]
	v_pk_add_f16 v83, v82, v83 neg_lo:[0,1] neg_hi:[0,1]
	ds_load_b32 v135, v21
	v_bfi_b32 v80, 0xffff, v107, v80
	s_wait_dscnt 0xd
	v_pk_add_f16 v74, v94, v74 neg_lo:[0,1] neg_hi:[0,1]
	s_wait_dscnt 0xc
	v_pk_add_f16 v75, v114, v75 neg_lo:[0,1] neg_hi:[0,1]
	v_pk_fma_f16 v82, v82, 2.0, v83 op_sel_hi:[1,0,1] neg_lo:[0,0,1] neg_hi:[0,0,1]
	v_bfi_b32 v81, 0xffff, v106, v81
	v_bfi_b32 v78, 0xffff, v105, v78
	v_pk_fma_f16 v93, v94, 2.0, v74 op_sel_hi:[1,0,1] neg_lo:[0,0,1] neg_hi:[0,0,1]
	v_add3_u32 v94, 0, v102, v112
	s_wait_dscnt 0x6
	v_pk_add_f16 v3, v129, v3 neg_lo:[0,1] neg_hi:[0,1]
	s_wait_dscnt 0x5
	v_pk_add_f16 v2, v130, v2 neg_lo:[0,1] neg_hi:[0,1]
	v_pk_fma_f16 v102, v114, 2.0, v75 op_sel_hi:[1,0,1] neg_lo:[0,0,1] neg_hi:[0,0,1]
	v_bfi_b32 v79, 0xffff, v104, v79
	v_bfi_b32 v76, 0xffff, v96, v76
	v_pk_fma_f16 v109, v129, 2.0, v3 op_sel_hi:[1,0,1] neg_lo:[0,0,1] neg_hi:[0,0,1]
	v_pk_fma_f16 v108, v130, 2.0, v2 op_sel_hi:[1,0,1] neg_lo:[0,0,1] neg_hi:[0,0,1]
	global_wb scope:SCOPE_SE
	s_wait_dscnt 0x0
	s_barrier_signal -1
	s_barrier_wait -1
	global_inv scope:SCOPE_SE
	ds_store_2addr_b32 v5, v82, v83 offset1:120
	ds_store_2addr_b32 v84, v93, v74 offset1:120
	;; [unrolled: 1-line block ×5, first 2 shown]
	v_mul_u32_u24_e32 v2, 0x3c0, v92
	v_pk_add_f16 v80, v120, v80 neg_lo:[0,1] neg_hi:[0,1]
	v_mul_u32_u24_e32 v3, 0x3c0, v90
	v_pk_add_f16 v81, v123, v81 neg_lo:[0,1] neg_hi:[0,1]
	;; [unrolled: 2-line block ×3, first 2 shown]
	v_mul_u32_u24_e32 v74, 0x3c0, v87
	v_bfi_b32 v82, 0xffff, v124, v95
	v_pk_add_f16 v79, v127, v79 neg_lo:[0,1] neg_hi:[0,1]
	v_bfi_b32 v75, 0xffff, v121, v122
	v_pk_add_f16 v76, v128, v76 neg_lo:[0,1] neg_hi:[0,1]
	v_add3_u32 v2, 0, v2, v103
	v_pk_add_f16 v77, v131, v77 neg_lo:[0,1] neg_hi:[0,1]
	v_pk_fma_f16 v88, v120, 2.0, v80 op_sel_hi:[1,0,1] neg_lo:[0,0,1] neg_hi:[0,0,1]
	v_add3_u32 v3, 0, v3, v100
	v_pk_fma_f16 v89, v123, 2.0, v81 op_sel_hi:[1,0,1] neg_lo:[0,0,1] neg_hi:[0,0,1]
	v_add3_u32 v5, 0, v5, v99
	;; [unrolled: 2-line block ×3, first 2 shown]
	v_pk_add_f16 v82, v132, v82 neg_lo:[0,1] neg_hi:[0,1]
	v_pk_fma_f16 v91, v127, 2.0, v79 op_sel_hi:[1,0,1] neg_lo:[0,0,1] neg_hi:[0,0,1]
	v_pk_add_f16 v75, v133, v75 neg_lo:[0,1] neg_hi:[0,1]
	v_pk_fma_f16 v92, v128, 2.0, v76 op_sel_hi:[1,0,1] neg_lo:[0,0,1] neg_hi:[0,0,1]
	;; [unrolled: 2-line block ×3, first 2 shown]
	ds_store_2addr_b32 v2, v88, v80 offset1:120
	ds_store_2addr_b32 v3, v89, v81 offset1:120
	;; [unrolled: 1-line block ×6, first 2 shown]
	v_lshlrev_b64_e32 v[1:2], 2, v[0:1]
	v_pk_add_f16 v70, v135, v70 neg_lo:[0,1] neg_hi:[0,1]
	v_pk_fma_f16 v86, v132, 2.0, v82 op_sel_hi:[1,0,1] neg_lo:[0,0,1] neg_hi:[0,0,1]
	v_pk_fma_f16 v85, v133, 2.0, v75 op_sel_hi:[1,0,1] neg_lo:[0,0,1] neg_hi:[0,0,1]
	;; [unrolled: 1-line block ×3, first 2 shown]
	v_add_nc_u32_e32 v5, 0xffffff90, v0
	v_pk_fma_f16 v83, v135, 2.0, v70 op_sel_hi:[1,0,1] neg_lo:[0,0,1] neg_hi:[0,0,1]
	v_add_co_u32 v3, s0, s4, v1
	ds_store_2addr_b32 v69, v86, v82 offset1:120
	ds_store_2addr_b32 v20, v85, v75 offset1:120
	;; [unrolled: 1-line block ×4, first 2 shown]
	s_wait_alu 0xf1ff
	v_add_co_ci_u32_e64 v4, s0, s5, v2, s0
	v_cmp_gt_u32_e64 s0, 0xf0, v24
	global_wb scope:SCOPE_SE
	s_wait_dscnt 0x0
	s_barrier_signal -1
	s_barrier_wait -1
	global_inv scope:SCOPE_SE
	s_wait_alu 0xf1ff
	v_cndmask_b32_e64 v5, v5, v24, s0
	s_clause 0x1
	global_load_b32 v69, v[3:4], off offset:920
	global_load_b32 v82, v[3:4], off offset:984
	v_lshrrev_b32_e32 v93, 23, v15
	v_lshrrev_b32_e32 v95, 23, v14
	v_lshlrev_b64_e32 v[19:20], 2, v[5:6]
	v_lshrrev_b32_e32 v70, 23, v13
	v_lshrrev_b32_e32 v97, 23, v12
	v_lshlrev_b32_e32 v5, 2, v5
	v_mul_lo_u16 v71, 0xf0, v95
	v_lshrrev_b32_e32 v15, 24, v15
	v_add_co_u32 v19, s0, s4, v19
	s_wait_alu 0xf1ff
	v_add_co_ci_u32_e64 v20, s0, s5, v20, s0
	v_cmp_lt_u32_e64 s0, 0xef, v24
	v_lshrrev_b32_e32 v13, 24, v13
	v_mul_lo_u16 v15, 0x1e0, v15
	global_load_b32 v81, v[19:20], off offset:920
	v_mul_lo_u16 v19, 0xf0, v10
	v_lshrrev_b32_e32 v20, 23, v17
	s_wait_alu 0xf1ff
	v_cndmask_b32_e64 v128, 0, 0x780, s0
	v_mul_u32_u24_e32 v10, 0x780, v10
	v_lshrrev_b32_e32 v17, 24, v17
	v_sub_nc_u16 v19, v50, v19
	v_mul_lo_u16 v20, 0xf0, v20
	v_add3_u32 v5, 0, v128, v5
	v_mul_lo_u16 v13, 0x1e0, v13
	v_mul_lo_u16 v17, 0x1e0, v17
	v_and_b32_e32 v19, 0xffff, v19
	v_sub_nc_u16 v20, v40, v20
	v_sub_nc_u16 v15, v38, v15
	;; [unrolled: 1-line block ×4, first 2 shown]
	v_lshlrev_b32_e32 v83, 2, v19
	v_mul_lo_u16 v19, 0xf0, v9
	v_lshrrev_b32_e32 v9, 23, v8
	v_and_b32_e32 v15, 0xffff, v15
	v_and_b32_e32 v17, 0xffff, v17
	global_load_b32 v84, v83, s[4:5] offset:920
	v_sub_nc_u16 v8, v48, v19
	v_mul_lo_u16 v19, 0xf0, v9
	v_add3_u32 v10, 0, v10, v83
	v_mul_u32_u24_e32 v9, 0x780, v9
	v_and_b32_e32 v13, 0xffff, v13
	v_and_b32_e32 v8, 0xffff, v8
	v_sub_nc_u16 v19, v46, v19
	v_lshrrev_b32_e32 v12, 24, v12
	v_lshlrev_b32_e32 v15, 2, v15
	s_delay_alu instid0(VALU_DEP_4) | instskip(NEXT) | instid1(VALU_DEP_4)
	v_lshlrev_b32_e32 v85, 2, v8
	v_and_b32_e32 v8, 0xffff, v19
	s_delay_alu instid0(VALU_DEP_4)
	v_mul_lo_u16 v12, 0x1e0, v12
	global_load_b32 v86, v85, s[4:5] offset:920
	v_lshlrev_b32_e32 v87, 2, v8
	v_lshlrev_b32_e32 v8, 2, v7
	v_lshrrev_b32_e32 v7, 23, v16
	v_lshrrev_b32_e32 v16, 24, v16
	v_sub_nc_u16 v12, v30, v12
	global_load_b32 v88, v87, s[4:5] offset:920
	v_add3_u32 v9, 0, v9, v87
	v_mul_lo_u16 v19, 0xf0, v7
	v_mul_u32_u24_e32 v7, 0x780, v7
	v_and_b32_e32 v12, 0xffff, v12
	s_delay_alu instid0(VALU_DEP_3) | instskip(NEXT) | instid1(VALU_DEP_1)
	v_sub_nc_u16 v19, v42, v19
	v_and_b32_e32 v19, 0xffff, v19
	s_delay_alu instid0(VALU_DEP_1)
	v_lshlrev_b32_e32 v90, 2, v19
	v_and_b32_e32 v19, 0xffff, v20
	v_lshrrev_b32_e32 v20, 23, v18
	v_lshrrev_b32_e32 v18, 24, v18
	global_load_b32 v91, v90, s[4:5] offset:920
	v_lshlrev_b32_e32 v92, 2, v19
	v_mul_lo_u16 v19, 0xf0, v93
	v_mul_lo_u16 v20, 0xf0, v20
	v_add3_u32 v7, 0, v7, v90
	global_load_b32 v94, v92, s[4:5] offset:920
	v_sub_nc_u16 v19, v38, v19
	v_sub_nc_u16 v20, v34, v20
	s_delay_alu instid0(VALU_DEP_2) | instskip(NEXT) | instid1(VALU_DEP_2)
	v_and_b32_e32 v19, 0xffff, v19
	v_and_b32_e32 v20, 0xffff, v20
	s_delay_alu instid0(VALU_DEP_2) | instskip(NEXT) | instid1(VALU_DEP_2)
	v_lshlrev_b32_e32 v96, 2, v19
	v_lshlrev_b32_e32 v99, 2, v20
	v_mul_lo_u16 v19, 0xf0, v70
	v_sub_nc_u16 v70, v36, v71
	v_lshrrev_b32_e32 v71, 23, v11
	s_clause 0x2
	global_load_b32 v98, v96, s[4:5] offset:920
	global_load_b32 v100, v99, s[4:5] offset:920
	;; [unrolled: 1-line block ×3, first 2 shown]
	v_sub_nc_u16 v19, v32, v19
	v_and_b32_e32 v20, 0xffff, v70
	v_mul_lo_u16 v70, 0xf0, v97
	v_add_nc_u32_e32 v8, 0, v8
	v_lshrrev_b32_e32 v11, 24, v11
	v_and_b32_e32 v19, 0xffff, v19
	v_lshlrev_b32_e32 v101, 2, v20
	v_sub_nc_u16 v20, v30, v70
	v_mul_lo_u16 v70, 0xf0, v71
	v_add_nc_u32_e32 v8, 0x1680, v8
	v_lshlrev_b32_e32 v102, 2, v19
	global_load_b32 v103, v101, s[4:5] offset:920
	v_and_b32_e32 v19, 0xffff, v20
	v_sub_nc_u16 v20, v28, v70
	v_mul_lo_u16 v11, 0x1e0, v11
	global_load_b32 v104, v102, s[4:5] offset:920
	v_lshlrev_b32_e32 v105, 2, v19
	v_and_b32_e32 v19, 0xffff, v20
	v_sub_nc_u16 v11, v28, v11
	global_load_b32 v106, v105, s[4:5] offset:920
	v_lshlrev_b32_e32 v107, 2, v19
	ds_load_2addr_stride64_b32 v[19:20], v53 offset1:30
	v_and_b32_e32 v11, 0xffff, v11
	global_load_b32 v108, v107, s[4:5] offset:920
	s_wait_dscnt 0x0
	v_lshrrev_b32_e32 v71, 16, v20
	s_wait_loadcnt 0xe
	v_lshrrev_b32_e32 v70, 16, v69
	s_delay_alu instid0(VALU_DEP_1) | instskip(SKIP_1) | instid1(VALU_DEP_2)
	v_mul_f16_e32 v72, v70, v71
	v_mul_f16_e32 v70, v70, v20
	v_fma_f16 v20, v69, v20, -v72
	s_delay_alu instid0(VALU_DEP_2) | instskip(SKIP_1) | instid1(VALU_DEP_3)
	v_fmac_f16_e32 v70, v69, v71
	v_lshrrev_b32_e32 v72, 16, v19
	v_sub_f16_e32 v69, v19, v20
	s_delay_alu instid0(VALU_DEP_2) | instskip(SKIP_2) | instid1(VALU_DEP_3)
	v_sub_f16_e32 v70, v72, v70
	s_wait_loadcnt 0xc
	v_lshrrev_b32_e32 v75, 16, v81
	v_fma_f16 v71, v19, 2.0, -v69
	ds_load_2addr_stride64_b32 v[19:20], v53 offset0:32 offset1:34
	ds_load_b32 v109, v60
	ds_load_b32 v110, v61
	ds_load_b32 v111, v59
	v_fma_f16 v72, v72, 2.0, -v70
	v_pack_b32_f16 v113, v69, v70
	ds_load_b32 v114, v68
	ds_load_b32 v115, v67
	;; [unrolled: 1-line block ×11, first 2 shown]
	v_pack_b32_f16 v112, v71, v72
	ds_load_2addr_stride64_b32 v[69:70], v53 offset0:36 offset1:38
	ds_load_2addr_stride64_b32 v[71:72], v53 offset0:40 offset1:42
	;; [unrolled: 1-line block ×3, first 2 shown]
	s_wait_dscnt 0x11
	v_lshrrev_b32_e32 v125, 16, v19
	v_mul_f16_e32 v126, v75, v19
	s_delay_alu instid0(VALU_DEP_2) | instskip(NEXT) | instid1(VALU_DEP_2)
	v_mul_f16_e32 v127, v75, v125
	v_fmac_f16_e32 v126, v81, v125
	s_wait_dscnt 0x2
	v_lshrrev_b32_e32 v128, 16, v69
	ds_load_2addr_stride64_b32 v[75:76], v53 offset0:48 offset1:50
	ds_load_2addr_stride64_b32 v[77:78], v53 offset0:52 offset1:54
	;; [unrolled: 1-line block ×3, first 2 shown]
	global_wb scope:SCOPE_SE
	s_wait_loadcnt_dscnt 0x0
	v_fma_f16 v19, v81, v19, -v127
	v_lshrrev_b32_e32 v81, 16, v109
	v_lshrrev_b32_e32 v127, 16, v20
	s_barrier_signal -1
	s_barrier_wait -1
	v_sub_f16_e32 v19, v109, v19
	v_sub_f16_e32 v125, v81, v126
	v_lshrrev_b32_e32 v126, 16, v82
	global_inv scope:SCOPE_SE
	v_fma_f16 v109, v109, 2.0, -v19
	v_fma_f16 v81, v81, 2.0, -v125
	v_mul_f16_e64 v129, v126, v127
	v_mul_f16_e32 v126, v126, v20
	v_pack_b32_f16 v19, v19, v125
	s_delay_alu instid0(VALU_DEP_4)
	v_pack_b32_f16 v81, v109, v81
	v_lshrrev_b32_e32 v109, 16, v84
	v_fma_f16 v20, v82, v20, -v129
	v_fmac_f16_e32 v126, v82, v127
	v_lshrrev_b32_e32 v82, 16, v110
	ds_store_2addr_b32 v53, v112, v113 offset1:240
	ds_store_2addr_b32 v5, v81, v19 offset1:240
	v_mul_f16_e32 v127, v69, v109
	v_mul_f16_e64 v109, v128, v109
	v_sub_f16_e32 v20, v110, v20
	v_sub_f16_e32 v125, v82, v126
	s_delay_alu instid0(VALU_DEP_4) | instskip(NEXT) | instid1(VALU_DEP_4)
	v_fmac_f16_e64 v127, v128, v84
	v_fma_f16 v69, v69, v84, -v109
	v_lshrrev_b32_e32 v84, 16, v119
	v_fma_f16 v110, v110, 2.0, -v20
	v_fma_f16 v82, v82, 2.0, -v125
	v_pack_b32_f16 v20, v20, v125
	v_sub_f16_e32 v5, v119, v69
	v_sub_f16_e32 v19, v84, v127
	v_lshrrev_b32_e32 v109, 16, v86
	v_pack_b32_f16 v69, v110, v82
	v_add_nc_u32_e32 v110, 0x7c0, v53
	v_fma_f16 v81, v119, 2.0, -v5
	v_fma_f16 v82, v84, 2.0, -v19
	v_lshrrev_b32_e32 v84, 16, v70
	v_pack_b32_f16 v5, v5, v19
	ds_store_2addr_b32 v110, v69, v20 offset1:240
	v_lshrrev_b32_e32 v20, 16, v88
	v_pack_b32_f16 v81, v81, v82
	v_mul_f16_e32 v19, v84, v109
	v_mul_f16_e32 v82, v70, v109
	v_lshrrev_b32_e32 v69, 16, v72
	ds_store_2addr_b32 v10, v81, v5 offset1:240
	v_fma_f16 v5, v70, v86, -v19
	v_fmac_f16_e32 v82, v84, v86
	v_lshrrev_b32_e32 v10, 16, v71
	v_mul_f16_e32 v19, v71, v20
	v_lshrrev_b32_e32 v70, 16, v118
	v_lshrrev_b32_e32 v81, 16, v89
	v_sub_f16_e32 v5, v118, v5
	v_mul_f16_e32 v20, v10, v20
	v_fmac_f16_e32 v19, v10, v88
	v_sub_f16_e32 v10, v70, v82
	v_mul_f16_e32 v82, v69, v81
	v_add_nc_u32_e32 v84, 0, v99
	v_fma_f16 v20, v71, v88, -v20
	v_mul_f16_e32 v71, v72, v81
	v_fma_f16 v81, v118, 2.0, -v5
	v_fma_f16 v70, v70, 2.0, -v10
	v_fma_f16 v72, v72, v89, -v82
	v_lshrrev_b32_e32 v82, 16, v111
	v_fmac_f16_e32 v71, v69, v89
	v_sub_f16_e32 v20, v111, v20
	v_pack_b32_f16 v69, v81, v70
	v_pack_b32_f16 v5, v5, v10
	v_sub_f16_e32 v10, v82, v19
	v_lshrrev_b32_e32 v70, 16, v114
	v_add_nc_u32_e32 v81, 0, v85
	v_fma_f16 v19, v111, 2.0, -v20
	v_sub_f16_e32 v72, v114, v72
	v_fma_f16 v82, v82, 2.0, -v10
	v_sub_f16_e32 v71, v70, v71
	v_add_nc_u32_e32 v81, 0xf00, v81
	v_pack_b32_f16 v10, v20, v10
	v_fma_f16 v20, v114, 2.0, -v72
	v_pack_b32_f16 v19, v19, v82
	v_fma_f16 v70, v70, 2.0, -v71
	ds_store_2addr_b32 v81, v69, v5 offset1:240
	v_lshrrev_b32_e32 v5, 16, v91
	v_lshrrev_b32_e32 v69, 16, v73
	ds_store_2addr_b32 v9, v19, v10 offset1:240
	v_pack_b32_f16 v9, v20, v70
	v_lshrrev_b32_e32 v20, 16, v74
	v_lshrrev_b32_e32 v70, 16, v94
	v_mul_f16_e32 v19, v73, v5
	v_mul_f16_e32 v5, v69, v5
	v_pack_b32_f16 v10, v72, v71
	v_lshlrev_b32_e32 v85, 2, v12
	v_mul_f16_e32 v71, v20, v70
	v_mul_f16_e32 v70, v74, v70
	v_fmac_f16_e32 v19, v69, v91
	v_fma_f16 v5, v73, v91, -v5
	v_lshrrev_b32_e32 v69, 16, v115
	v_fma_f16 v71, v74, v94, -v71
	v_fmac_f16_e32 v70, v20, v94
	v_lshrrev_b32_e32 v20, 16, v116
	v_sub_f16_e32 v5, v115, v5
	v_sub_f16_e32 v19, v69, v19
	;; [unrolled: 1-line block ×3, first 2 shown]
	ds_store_2addr_b32 v8, v9, v10 offset1:240
	v_sub_f16_e32 v70, v20, v70
	v_fma_f16 v72, v115, 2.0, -v5
	v_fma_f16 v69, v69, 2.0, -v19
	;; [unrolled: 1-line block ×3, first 2 shown]
	v_pack_b32_f16 v5, v5, v19
	v_fma_f16 v10, v20, 2.0, -v70
	v_add_nc_u32_e32 v19, 0, v92
	v_pack_b32_f16 v8, v72, v69
	v_lshrrev_b32_e32 v20, 16, v98
	v_lshrrev_b32_e32 v69, 16, v75
	v_pack_b32_f16 v9, v9, v10
	v_pack_b32_f16 v10, v71, v70
	v_add_nc_u32_e32 v19, 0x1e00, v19
	v_mul_f16_e32 v70, v75, v20
	v_mul_f16_e32 v20, v69, v20
	v_lshrrev_b32_e32 v72, 16, v100
	ds_store_2addr_b32 v7, v8, v5 offset1:240
	ds_store_2addr_b32 v19, v9, v10 offset1:240
	v_lshrrev_b32_e32 v8, 16, v103
	v_lshrrev_b32_e32 v71, 16, v76
	v_fmac_f16_e32 v70, v69, v98
	v_fma_f16 v5, v75, v98, -v20
	v_mul_f16_e32 v9, v76, v72
	v_lshrrev_b32_e32 v10, 16, v77
	v_lshrrev_b32_e32 v19, 16, v78
	;; [unrolled: 1-line block ×3, first 2 shown]
	v_mul_f16_e32 v69, v77, v8
	v_mul_f16_e32 v7, v71, v72
	;; [unrolled: 1-line block ×3, first 2 shown]
	v_fmac_f16_e32 v9, v71, v100
	v_mul_f16_e32 v71, v19, v20
	v_fmac_f16_e32 v69, v10, v103
	v_lshrrev_b32_e32 v10, 16, v106
	v_mul_f16_e32 v20, v78, v20
	v_fma_f16 v7, v76, v100, -v7
	v_fma_f16 v8, v77, v103, -v8
	v_lshrrev_b32_e32 v72, 16, v79
	v_mul_f16_e32 v73, v79, v10
	v_lshrrev_b32_e32 v74, 16, v80
	v_lshrrev_b32_e32 v75, 16, v108
	v_fmac_f16_e32 v20, v19, v104
	v_lshrrev_b32_e32 v19, 16, v117
	v_lshrrev_b32_e32 v77, 16, v120
	v_fma_f16 v71, v78, v104, -v71
	v_mul_f16_e32 v10, v72, v10
	v_fmac_f16_e32 v73, v72, v106
	v_mul_f16_e32 v72, v74, v75
	v_mul_f16_e32 v75, v80, v75
	v_sub_f16_e32 v5, v117, v5
	v_sub_f16_e32 v70, v19, v70
	v_lshrrev_b32_e32 v78, 16, v121
	v_sub_f16_e32 v7, v120, v7
	v_sub_f16_e32 v9, v77, v9
	v_fma_f16 v72, v80, v108, -v72
	v_fmac_f16_e32 v75, v74, v108
	v_mul_u32_u24_e32 v74, 0x780, v93
	v_fma_f16 v76, v117, 2.0, -v5
	v_fma_f16 v19, v19, 2.0, -v70
	v_sub_f16_e32 v8, v121, v8
	v_fma_f16 v80, v120, 2.0, -v7
	v_fma_f16 v77, v77, 2.0, -v9
	v_sub_f16_e32 v69, v78, v69
	v_add3_u32 v74, 0, v74, v96
	v_pack_b32_f16 v19, v76, v19
	v_pack_b32_f16 v5, v5, v70
	v_fma_f16 v81, v121, 2.0, -v8
	v_fma_f16 v78, v78, 2.0, -v69
	v_pack_b32_f16 v77, v80, v77
	v_mul_u32_u24_e32 v80, 0x780, v95
	v_pack_b32_f16 v7, v7, v9
	v_add_nc_u32_e32 v9, 0x2580, v84
	v_fma_f16 v10, v79, v106, -v10
	v_lshrrev_b32_e32 v79, 16, v122
	v_lshrrev_b32_e32 v76, 16, v123
	v_lshrrev_b32_e32 v70, 16, v124
	ds_store_2addr_b32 v74, v19, v5 offset1:240
	ds_store_2addr_b32 v9, v77, v7 offset1:240
	v_add3_u32 v5, 0, v80, v101
	v_pack_b32_f16 v7, v81, v78
	v_pack_b32_f16 v8, v8, v69
	v_sub_f16_e32 v71, v122, v71
	v_sub_f16_e32 v20, v79, v20
	;; [unrolled: 1-line block ×6, first 2 shown]
	ds_store_2addr_b32 v5, v7, v8 offset1:240
	v_lshlrev_b64_e32 v[7:8], 2, v[24:25]
	v_fma_f16 v82, v122, 2.0, -v71
	v_fma_f16 v79, v79, 2.0, -v20
	v_add_nc_u32_e32 v9, 0, v102
	v_fma_f16 v83, v123, 2.0, -v10
	v_fma_f16 v76, v76, 2.0, -v73
	v_mul_u32_u24_e32 v19, 0x780, v97
	v_fma_f16 v84, v124, 2.0, -v72
	v_fma_f16 v70, v70, 2.0, -v75
	v_pack_b32_f16 v20, v71, v20
	v_add_nc_u32_e32 v71, 0, v107
	v_add_co_u32 v7, s0, s4, v7
	v_pack_b32_f16 v69, v82, v79
	v_add_nc_u32_e32 v9, 0x2d00, v9
	s_wait_alu 0xf1ff
	v_add_co_ci_u32_e64 v8, s0, s5, v8, s0
	v_add3_u32 v19, 0, v19, v105
	v_pack_b32_f16 v74, v83, v76
	v_pack_b32_f16 v10, v10, v73
	v_add_nc_u32_e32 v5, 0xffffffa0, v0
	v_cmp_gt_u32_e64 s0, 0x1e0, v50
	v_pack_b32_f16 v70, v84, v70
	v_pack_b32_f16 v72, v72, v75
	v_add_nc_u32_e32 v71, 0x3480, v71
	ds_store_2addr_b32 v9, v69, v20 offset1:240
	ds_store_2addr_b32 v19, v74, v10 offset1:240
	;; [unrolled: 1-line block ×3, first 2 shown]
	v_lshlrev_b64_e32 v[9:10], 2, v[26:27]
	s_wait_alu 0xf1ff
	v_cndmask_b32_e64 v5, v5, v50, s0
	global_wb scope:SCOPE_SE
	s_wait_dscnt 0x0
	s_barrier_signal -1
	s_barrier_wait -1
	global_inv scope:SCOPE_SE
	v_add_co_u32 v9, s0, s4, v9
	v_lshlrev_b64_e32 v[19:20], 2, v[5:6]
	s_wait_alu 0xf1ff
	v_add_co_ci_u32_e64 v10, s0, s5, v10, s0
	s_clause 0x1
	global_load_b32 v25, v[7:8], off offset:1880
	global_load_b32 v27, v[9:10], off offset:1880
	v_add_co_u32 v19, s0, s4, v19
	s_wait_alu 0xf1ff
	v_add_co_ci_u32_e64 v20, s0, s5, v20, s0
	s_clause 0x4
	global_load_b32 v19, v[19:20], off offset:1880
	global_load_b32 v20, v[3:4], off offset:1880
	;; [unrolled: 1-line block ×5, first 2 shown]
	v_mul_lo_u16 v70, 0x1e0, v16
	v_lshrrev_b32_e32 v74, 24, v14
	v_mul_lo_u16 v14, 0x1e0, v18
	v_lshlrev_b32_e32 v76, 2, v17
	v_lshlrev_b32_e32 v83, 2, v13
	v_sub_nc_u16 v70, v42, v70
	v_mul_lo_u16 v17, 0x1e0, v74
	v_sub_nc_u16 v14, v34, v14
	s_clause 0x1
	global_load_b32 v77, v76, s[4:5] offset:1880
	global_load_b32 v84, v83, s[4:5] offset:1880
	v_and_b32_e32 v70, 0xffff, v70
	v_sub_nc_u16 v17, v36, v17
	v_and_b32_e32 v14, 0xffff, v14
	v_lshlrev_b32_e32 v86, 2, v11
	v_cmp_lt_u32_e64 s0, 0x1df, v50
	v_lshlrev_b32_e32 v73, 2, v70
	v_and_b32_e32 v17, 0xffff, v17
	v_lshlrev_b32_e32 v79, 2, v14
	v_lshlrev_b32_e32 v5, 2, v5
	v_mul_u32_u24_e32 v16, 0xf00, v16
	global_load_b32 v75, v73, s[4:5] offset:1880
	v_lshlrev_b32_e32 v80, 2, v17
	s_clause 0x4
	global_load_b32 v81, v79, s[4:5] offset:1880
	global_load_b32 v82, v80, s[4:5] offset:1880
	;; [unrolled: 1-line block ×5, first 2 shown]
	ds_load_2addr_stride64_b32 v[11:12], v53 offset0:32 offset1:34
	ds_load_2addr_stride64_b32 v[13:14], v53 offset1:30
	ds_load_2addr_stride64_b32 v[17:18], v53 offset0:36 offset1:38
	v_add_nc_u32_e32 v76, 0, v76
	v_add_nc_u32_e32 v15, 0, v15
	s_wait_dscnt 0x2
	v_lshrrev_b32_e32 v89, 16, v11
	v_lshrrev_b32_e32 v92, 16, v12
	s_wait_dscnt 0x1
	v_lshrrev_b32_e32 v95, 16, v14
	s_wait_loadcnt 0xe
	v_lshrrev_b32_e32 v70, 16, v25
	s_wait_loadcnt 0xd
	v_lshrrev_b32_e32 v91, 16, v27
	s_delay_alu instid0(VALU_DEP_2)
	v_mul_f16_e32 v90, v70, v11
	v_mul_f16_e32 v70, v70, v89
	s_wait_loadcnt 0xb
	v_lshrrev_b32_e32 v94, 16, v20
	v_lshrrev_b32_e32 v93, 16, v19
	v_fmac_f16_e32 v90, v25, v89
	v_mul_f16_e32 v89, v91, v92
	v_fma_f16 v25, v25, v11, -v70
	v_mul_f16_e32 v70, v94, v95
	v_mul_f16_e32 v91, v91, v12
	s_wait_dscnt 0x0
	v_lshrrev_b32_e32 v11, 16, v17
	v_fma_f16 v89, v27, v12, -v89
	v_mul_f16_e32 v12, v94, v14
	v_fma_f16 v14, v20, v14, -v70
	s_wait_loadcnt 0xa
	v_lshrrev_b32_e32 v70, 16, v69
	v_mul_f16_e32 v94, v17, v93
	v_fmac_f16_e32 v91, v27, v92
	v_lshrrev_b32_e32 v27, 16, v18
	v_mul_f16_e32 v92, v11, v93
	v_mul_f16_e32 v93, v18, v70
	v_fmac_f16_e32 v12, v20, v95
	v_lshrrev_b32_e32 v20, 16, v13
	v_fmac_f16_e32 v94, v11, v19
	v_sub_f16_e32 v11, v13, v14
	v_mul_f16_e32 v14, v27, v70
	v_fmac_f16_e32 v93, v27, v69
	ds_load_b32 v27, v60
	ds_load_b32 v96, v61
	v_sub_f16_e32 v12, v20, v12
	v_fma_f16 v92, v17, v19, -v92
	v_fma_f16 v13, v13, 2.0, -v11
	v_fma_f16 v95, v18, v69, -v14
	ds_load_b32 v98, v59
	v_fma_f16 v17, v20, 2.0, -v12
	v_pack_b32_f16 v99, v11, v12
	s_delay_alu instid0(VALU_DEP_2)
	v_pack_b32_f16 v97, v13, v17
	ds_load_b32 v100, v68
	ds_load_b32 v101, v67
	;; [unrolled: 1-line block ×11, first 2 shown]
	ds_load_2addr_stride64_b32 v[11:12], v53 offset0:40 offset1:42
	ds_load_2addr_stride64_b32 v[13:14], v53 offset0:44 offset1:46
	;; [unrolled: 1-line block ×5, first 2 shown]
	global_wb scope:SCOPE_SE
	s_wait_loadcnt_dscnt 0x0
	s_barrier_signal -1
	s_barrier_wait -1
	global_inv scope:SCOPE_SE
	ds_store_b32 v53, v97
	ds_store_b32 v53, v99 offset:1920
	v_lshrrev_b32_e32 v111, 16, v27
	v_lshrrev_b32_e32 v112, 16, v96
	v_sub_f16_e32 v25, v27, v25
	v_sub_f16_e32 v89, v96, v89
	v_lshrrev_b32_e32 v97, 16, v105
	v_sub_f16_e32 v90, v111, v90
	v_sub_f16_e32 v91, v112, v91
	v_fma_f16 v27, v27, 2.0, -v25
	v_fma_f16 v96, v96, 2.0, -v89
	v_sub_f16_e32 v92, v105, v92
	v_fma_f16 v111, v111, 2.0, -v90
	v_fma_f16 v99, v112, 2.0, -v91
	v_sub_f16_e32 v94, v97, v94
	v_pack_b32_f16 v25, v25, v90
	v_fma_f16 v105, v105, 2.0, -v92
	v_pack_b32_f16 v27, v27, v111
	v_pack_b32_f16 v90, v96, v99
	v_fma_f16 v97, v97, 2.0, -v94
	v_pack_b32_f16 v92, v92, v94
	v_lshrrev_b32_e32 v94, 16, v71
	v_lshrrev_b32_e32 v96, 16, v11
	v_pack_b32_f16 v89, v89, v91
	ds_store_b32 v60, v27
	ds_store_b32 v60, v25 offset:1920
	ds_store_b32 v61, v90
	ds_store_b32 v61, v89 offset:1920
	v_mul_f16_e32 v25, v11, v94
	v_mul_f16_e32 v27, v96, v94
	v_lshrrev_b32_e32 v89, 16, v104
	v_lshrrev_b32_e32 v90, 16, v12
	;; [unrolled: 1-line block ×3, first 2 shown]
	v_fmac_f16_e32 v25, v96, v71
	v_fma_f16 v11, v11, v71, -v27
	v_sub_f16_e32 v27, v89, v93
	v_lshrrev_b32_e32 v96, 16, v98
	v_mul_f16_e32 v71, v90, v94
	v_mul_f16_e32 v93, v12, v94
	s_wait_alu 0xf1ff
	v_cndmask_b32_e64 v111, 0, 0xf00, s0
	v_sub_f16_e32 v95, v104, v95
	v_sub_f16_e32 v11, v98, v11
	v_fma_f16 v12, v12, v72, -v71
	v_fmac_f16_e32 v93, v90, v72
	v_lshrrev_b32_e32 v71, 16, v100
	v_sub_f16_e32 v25, v96, v25
	v_add3_u32 v5, 0, v111, v5
	v_pack_b32_f16 v91, v105, v97
	v_fma_f16 v94, v104, 2.0, -v95
	v_fma_f16 v72, v89, 2.0, -v27
	v_sub_f16_e32 v12, v100, v12
	v_sub_f16_e32 v90, v71, v93
	v_fma_f16 v89, v98, 2.0, -v11
	v_fma_f16 v93, v96, 2.0, -v25
	ds_store_b32 v5, v91
	ds_store_b32 v5, v92 offset:1920
	v_pack_b32_f16 v5, v94, v72
	v_fma_f16 v72, v100, 2.0, -v12
	v_fma_f16 v71, v71, 2.0, -v90
	v_pack_b32_f16 v89, v89, v93
	v_add_nc_u32_e32 v91, 0x80, v53
	v_lshrrev_b32_e32 v92, 16, v75
	v_pack_b32_f16 v27, v95, v27
	v_lshrrev_b32_e32 v93, 16, v13
	v_lshrrev_b32_e32 v95, 16, v14
	;; [unrolled: 1-line block ×3, first 2 shown]
	v_pack_b32_f16 v71, v72, v71
	v_add_nc_u32_e32 v72, 0x1380, v53
	v_mul_f16_e32 v94, v13, v92
	ds_store_2addr_stride64_b32 v91, v5, v89 offset0:15 offset1:17
	ds_store_2addr_b32 v72, v71, v27 offset1:224
	v_mul_f16_e32 v5, v93, v92
	v_mul_f16_e32 v27, v95, v96
	v_lshrrev_b32_e32 v71, 16, v78
	v_lshrrev_b32_e32 v89, 16, v17
	v_fmac_f16_e32 v94, v93, v75
	v_mul_f16_e32 v72, v14, v96
	v_fma_f16 v5, v13, v75, -v5
	v_fma_f16 v13, v14, v77, -v27
	v_mul_f16_e32 v14, v17, v71
	v_mul_f16_e32 v27, v89, v71
	v_lshrrev_b32_e32 v71, 16, v18
	v_lshrrev_b32_e32 v75, 16, v81
	v_fmac_f16_e32 v72, v95, v77
	v_fmac_f16_e32 v14, v89, v78
	v_lshrrev_b32_e32 v77, 16, v82
	v_lshrrev_b32_e32 v89, 16, v19
	v_fma_f16 v17, v17, v78, -v27
	v_mul_f16_e32 v27, v71, v75
	v_mul_f16_e32 v75, v18, v75
	v_lshrrev_b32_e32 v91, 16, v20
	v_lshrrev_b32_e32 v92, 16, v84
	v_mul_f16_e32 v78, v19, v77
	v_mul_f16_e32 v77, v89, v77
	v_fmac_f16_e32 v75, v71, v81
	v_lshrrev_b32_e32 v71, 16, v87
	v_fma_f16 v18, v18, v81, -v27
	v_mul_f16_e32 v27, v91, v92
	v_lshrrev_b32_e32 v81, 16, v69
	v_fmac_f16_e32 v78, v89, v82
	v_fma_f16 v19, v19, v82, -v77
	v_mul_f16_e32 v77, v20, v92
	v_lshrrev_b32_e32 v82, 16, v70
	v_lshrrev_b32_e32 v89, 16, v88
	v_mul_f16_e32 v92, v69, v71
	v_fma_f16 v20, v20, v84, -v27
	v_mul_f16_e32 v27, v81, v71
	v_sub_f16_e32 v5, v101, v5
	v_mul_f16_e32 v71, v82, v89
	v_fmac_f16_e32 v92, v81, v87
	v_lshrrev_b32_e32 v81, 16, v101
	v_fma_f16 v27, v69, v87, -v27
	v_mul_f16_e32 v69, v70, v89
	v_fma_f16 v70, v70, v88, -v71
	v_pack_b32_f16 v11, v11, v25
	v_sub_f16_e32 v71, v81, v94
	v_pack_b32_f16 v12, v12, v90
	v_fmac_f16_e32 v69, v82, v88
	v_lshrrev_b32_e32 v82, 16, v102
	v_fma_f16 v25, v101, 2.0, -v5
	v_fma_f16 v81, v81, 2.0, -v71
	ds_store_2addr_stride64_b32 v53, v11, v12 offset0:25 offset1:27
	v_add3_u32 v11, 0, v16, v73
	v_sub_f16_e32 v13, v102, v13
	v_sub_f16_e32 v16, v82, v72
	v_pack_b32_f16 v12, v25, v81
	v_pack_b32_f16 v5, v5, v71
	v_lshrrev_b32_e32 v25, 16, v103
	v_fma_f16 v72, v102, 2.0, -v13
	v_fma_f16 v73, v82, 2.0, -v16
	v_lshrrev_b32_e32 v71, 16, v106
	ds_store_b32 v11, v12
	ds_store_b32 v11, v5 offset:1920
	v_lshrrev_b32_e32 v5, 16, v107
	v_fmac_f16_e32 v77, v91, v84
	v_lshrrev_b32_e32 v11, 16, v108
	v_sub_f16_e32 v12, v103, v17
	v_sub_f16_e32 v14, v25, v14
	v_pack_b32_f16 v17, v72, v73
	v_lshrrev_b32_e32 v72, 16, v109
	v_pack_b32_f16 v13, v13, v16
	v_lshrrev_b32_e32 v16, 16, v110
	v_sub_f16_e32 v18, v106, v18
	v_sub_f16_e32 v75, v71, v75
	;; [unrolled: 1-line block ×4, first 2 shown]
	v_fma_f16 v73, v103, 2.0, -v12
	v_fma_f16 v25, v25, 2.0, -v14
	v_sub_f16_e32 v20, v108, v20
	v_sub_f16_e32 v77, v11, v77
	;; [unrolled: 1-line block ×4, first 2 shown]
	v_fma_f16 v81, v106, 2.0, -v18
	v_fma_f16 v71, v71, 2.0, -v75
	v_fma_f16 v82, v107, 2.0, -v19
	v_fma_f16 v5, v5, 2.0, -v78
	v_sub_f16_e32 v70, v110, v70
	v_sub_f16_e32 v69, v16, v69
	v_fma_f16 v84, v108, 2.0, -v20
	v_fma_f16 v11, v11, 2.0, -v77
	v_pack_b32_f16 v25, v73, v25
	v_mul_u32_u24_e32 v73, 0xf00, v74
	v_fma_f16 v88, v109, 2.0, -v27
	v_fma_f16 v72, v72, 2.0, -v87
	v_pack_b32_f16 v12, v12, v14
	v_fma_f16 v89, v110, 2.0, -v70
	v_fma_f16 v16, v16, 2.0, -v69
	v_add_nc_u32_e32 v14, 0, v79
	v_pack_b32_f16 v71, v81, v71
	v_pack_b32_f16 v5, v82, v5
	;; [unrolled: 1-line block ×3, first 2 shown]
	v_add3_u32 v73, 0, v73, v80
	v_pack_b32_f16 v19, v19, v78
	ds_store_b32 v76, v17 offset:7680
	ds_store_b32 v76, v13 offset:9600
	;; [unrolled: 1-line block ×6, first 2 shown]
	ds_store_b32 v73, v5
	ds_store_b32 v73, v19 offset:1920
	v_add_nc_u32_e32 v5, 0, v83
	v_pack_b32_f16 v11, v84, v11
	v_pack_b32_f16 v12, v20, v77
	v_add_nc_u32_e32 v13, 0, v85
	v_pack_b32_f16 v14, v88, v72
	v_pack_b32_f16 v15, v27, v87
	;; [unrolled: 3-line block ×3, first 2 shown]
	ds_store_b32 v5, v11 offset:11520
	ds_store_b32 v5, v12 offset:13440
	ds_store_b32 v13, v14 offset:11520
	ds_store_b32 v13, v15 offset:13440
	ds_store_b32 v17, v16 offset:11520
	ds_store_b32 v17, v18 offset:13440
	v_lshlrev_b64_e32 v[11:12], 2, v[50:51]
	v_lshlrev_b64_e32 v[13:14], 2, v[48:49]
	global_wb scope:SCOPE_SE
	s_wait_dscnt 0x0
	s_barrier_signal -1
	s_barrier_wait -1
	global_inv scope:SCOPE_SE
	s_clause 0x1
	global_load_b32 v25, v[7:8], off offset:3800
	global_load_b32 v27, v[9:10], off offset:3800
	v_add_co_u32 v15, s0, s4, v11
	s_wait_alu 0xf1ff
	v_add_co_ci_u32_e64 v16, s0, s5, v12, s0
	v_add_co_u32 v13, s0, s4, v13
	v_lshlrev_b64_e32 v[11:12], 2, v[46:47]
	s_wait_alu 0xf1ff
	v_add_co_ci_u32_e64 v14, s0, s5, v14, s0
	s_clause 0x1
	global_load_b32 v69, v[15:16], off offset:3800
	global_load_b32 v70, v[13:14], off offset:3800
	v_add_co_u32 v17, s0, s4, v11
	v_lshlrev_b64_e32 v[19:20], 2, v[44:45]
	s_wait_alu 0xf1ff
	v_add_co_ci_u32_e64 v18, s0, s5, v12, s0
	v_add_nc_u32_e32 v5, 0xfffffc40, v42
	v_cmp_gt_u32_e64 s0, 0x3c0, v42
	s_wait_alu 0xf1ff
	s_delay_alu instid0(VALU_DEP_1) | instskip(SKIP_3) | instid1(VALU_DEP_3)
	v_cndmask_b32_e64 v5, v5, v42, s0
	v_add_co_u32 v11, s0, s4, v19
	s_wait_alu 0xf1ff
	v_add_co_ci_u32_e64 v12, s0, s5, v20, s0
	v_lshlrev_b64_e32 v[19:20], 2, v[5:6]
	s_clause 0x1
	global_load_b32 v6, v[17:18], off offset:3800
	global_load_b32 v71, v[11:12], off offset:3800
	v_lshlrev_b32_e32 v5, 2, v5
	v_add_co_u32 v19, s0, s4, v19
	s_wait_alu 0xf1ff
	v_add_co_ci_u32_e64 v20, s0, s5, v20, s0
	s_clause 0x8
	global_load_b32 v72, v[19:20], off offset:3800
	global_load_b32 v73, v[3:4], off offset:4056
	;; [unrolled: 1-line block ×9, first 2 shown]
	ds_load_2addr_stride64_b32 v[19:20], v53 offset0:36 offset1:38
	ds_load_2addr_stride64_b32 v[44:45], v53 offset0:32 offset1:34
	;; [unrolled: 1-line block ×4, first 2 shown]
	v_cmp_lt_u32_e64 s0, 0x3bf, v42
	s_wait_dscnt 0x3
	v_lshrrev_b32_e32 v81, 16, v19
	s_wait_dscnt 0x2
	v_lshrrev_b32_e32 v83, 16, v44
	v_lshrrev_b32_e32 v86, 16, v45
	;; [unrolled: 1-line block ×3, first 2 shown]
	s_wait_dscnt 0x1
	v_lshrrev_b32_e32 v87, 16, v46
	s_wait_loadcnt 0xe
	v_lshrrev_b32_e32 v50, 16, v25
	s_wait_loadcnt 0xd
	v_lshrrev_b32_e32 v85, 16, v27
	s_delay_alu instid0(VALU_DEP_2)
	v_mul_f16_e32 v84, v50, v44
	v_mul_f16_e32 v88, v50, v83
	ds_load_2addr_stride64_b32 v[50:51], v53 offset0:48 offset1:50
	v_fmac_f16_e32 v84, v25, v83
	v_mul_f16_e32 v83, v85, v86
	s_wait_loadcnt 0xc
	v_lshrrev_b32_e32 v89, 16, v69
	v_fma_f16 v25, v25, v44, -v88
	v_mul_f16_e32 v85, v85, v45
	s_wait_loadcnt 0xb
	v_lshrrev_b32_e32 v88, 16, v70
	v_fma_f16 v83, v27, v45, -v83
	v_mul_f16_e32 v45, v81, v89
	v_mul_f16_e32 v89, v19, v89
	v_fmac_f16_e32 v85, v27, v86
	v_lshrrev_b32_e32 v44, 16, v47
	s_wait_dscnt 0x1
	v_lshrrev_b32_e32 v27, 16, v48
	v_fma_f16 v86, v19, v69, -v45
	v_mul_f16_e32 v19, v82, v88
	v_fmac_f16_e32 v89, v81, v69
	v_mul_f16_e32 v69, v20, v88
	v_lshrrev_b32_e32 v81, 16, v49
	s_delay_alu instid0(VALU_DEP_4) | instskip(NEXT) | instid1(VALU_DEP_3)
	v_fma_f16 v88, v20, v70, -v19
	v_fmac_f16_e32 v69, v82, v70
	s_wait_loadcnt 0xa
	v_lshrrev_b32_e32 v45, 16, v6
	s_wait_loadcnt 0x9
	v_lshrrev_b32_e32 v19, 16, v71
	s_wait_dscnt 0x0
	v_lshrrev_b32_e32 v70, 16, v50
	s_wait_loadcnt 0x8
	v_lshrrev_b32_e32 v82, 16, v72
	v_mul_f16_e32 v90, v46, v45
	v_mul_f16_e32 v20, v87, v45
	;; [unrolled: 1-line block ×3, first 2 shown]
	s_wait_loadcnt 0x5
	v_lshrrev_b32_e32 v93, 16, v75
	v_mul_f16_e32 v92, v48, v82
	v_fmac_f16_e32 v90, v87, v6
	v_mul_f16_e32 v87, v47, v19
	v_fma_f16 v91, v47, v71, -v45
	v_lshrrev_b32_e32 v45, 16, v73
	v_fma_f16 v6, v46, v6, -v20
	ds_load_2addr_stride64_b32 v[19:20], v53 offset0:52 offset1:54
	v_mul_f16_e32 v46, v27, v82
	v_fmac_f16_e32 v87, v44, v71
	v_mul_f16_e32 v44, v81, v45
	v_fmac_f16_e32 v92, v27, v72
	v_lshrrev_b32_e32 v27, 16, v74
	v_fma_f16 v48, v48, v72, -v46
	ds_load_2addr_stride64_b32 v[46:47], v53 offset0:56 offset1:58
	v_fma_f16 v72, v49, v73, -v44
	v_mul_f16_e32 v49, v49, v45
	ds_load_2addr_stride64_b32 v[44:45], v53 offset1:30
	v_lshrrev_b32_e32 v71, 16, v51
	v_mul_f16_e32 v82, v50, v27
	v_mul_f16_e32 v27, v70, v27
	v_fmac_f16_e32 v49, v81, v73
	s_wait_loadcnt 0x4
	v_lshrrev_b32_e32 v73, 16, v76
	s_wait_loadcnt 0x3
	v_lshrrev_b32_e32 v94, 16, v77
	v_fmac_f16_e32 v82, v70, v74
	v_mul_f16_e32 v70, v71, v93
	v_fma_f16 v27, v50, v74, -v27
	s_wait_dscnt 0x2
	v_lshrrev_b32_e32 v50, 16, v19
	v_mul_f16_e32 v74, v51, v93
	v_lshrrev_b32_e32 v81, 16, v20
	v_mul_f16_e32 v93, v19, v73
	v_fma_f16 v51, v51, v75, -v70
	v_mul_f16_e32 v73, v50, v73
	v_fmac_f16_e32 v74, v71, v75
	s_wait_loadcnt 0x0
	v_lshrrev_b32_e32 v70, 16, v80
	v_fmac_f16_e32 v93, v50, v76
	v_mul_f16_e32 v50, v81, v94
	s_wait_dscnt 0x0
	v_lshrrev_b32_e32 v71, 16, v45
	v_fma_f16 v19, v19, v76, -v73
	v_mul_f16_e32 v73, v20, v94
	v_lshrrev_b32_e32 v75, 16, v78
	v_fma_f16 v20, v20, v77, -v50
	v_mul_f16_e32 v50, v70, v45
	v_mul_f16_e32 v70, v70, v71
	v_lshrrev_b32_e32 v76, 16, v46
	v_lshrrev_b32_e32 v94, 16, v47
	v_fmac_f16_e32 v73, v81, v77
	v_fmac_f16_e32 v50, v80, v71
	v_fma_f16 v45, v80, v45, -v70
	v_mul_f16_e32 v71, v46, v75
	v_mul_f16_e32 v75, v76, v75
	ds_load_b32 v80, v60
	v_lshrrev_b32_e32 v70, 16, v44
	v_lshrrev_b32_e32 v77, 16, v79
	v_sub_f16_e32 v45, v44, v45
	v_fma_f16 v46, v46, v78, -v75
	ds_load_b32 v75, v61
	v_sub_f16_e32 v50, v70, v50
	v_fmac_f16_e32 v71, v76, v78
	v_mul_f16_e32 v76, v94, v77
	v_mul_f16_e32 v77, v47, v77
	v_fma_f16 v44, v44, 2.0, -v45
	v_fma_f16 v70, v70, 2.0, -v50
	v_pack_b32_f16 v45, v45, v50
	v_fma_f16 v47, v47, v79, -v76
	v_fmac_f16_e32 v77, v94, v79
	s_delay_alu instid0(VALU_DEP_4)
	v_pack_b32_f16 v44, v44, v70
	ds_load_b32 v70, v59
	ds_load_b32 v50, v68
	;; [unrolled: 1-line block ×12, first 2 shown]
	s_wait_dscnt 0xd
	v_lshrrev_b32_e32 v96, 16, v80
	v_sub_f16_e32 v25, v80, v25
	global_wb scope:SCOPE_SE
	s_wait_dscnt 0x0
	s_barrier_signal -1
	s_barrier_wait -1
	v_sub_f16_e32 v84, v96, v84
	v_lshrrev_b32_e32 v101, 16, v75
	v_fma_f16 v80, v80, 2.0, -v25
	v_sub_f16_e32 v83, v75, v83
	global_inv scope:SCOPE_SE
	v_fma_f16 v96, v96, 2.0, -v84
	v_sub_f16_e32 v85, v101, v85
	v_pack_b32_f16 v25, v25, v84
	v_fma_f16 v75, v75, 2.0, -v83
	ds_store_2addr_stride64_b32 v53, v44, v45 offset1:15
	v_pack_b32_f16 v80, v80, v96
	v_fma_f16 v84, v101, 2.0, -v85
	v_lshrrev_b32_e32 v44, 16, v94
	v_pack_b32_f16 v83, v83, v85
	v_sub_f16_e32 v6, v70, v6
	ds_store_2addr_stride64_b32 v60, v80, v25 offset1:15
	v_pack_b32_f16 v45, v75, v84
	v_sub_f16_e32 v75, v94, v86
	v_sub_f16_e32 v80, v44, v89
	v_lshrrev_b32_e32 v25, 16, v81
	v_sub_f16_e32 v84, v81, v88
	ds_store_2addr_stride64_b32 v61, v45, v83 offset1:15
	v_fma_f16 v85, v94, 2.0, -v75
	v_fma_f16 v44, v44, 2.0, -v80
	v_sub_f16_e32 v69, v25, v69
	v_lshrrev_b32_e32 v45, 16, v70
	v_pack_b32_f16 v75, v75, v80
	v_fma_f16 v81, v81, 2.0, -v84
	v_pack_b32_f16 v44, v85, v44
	v_fma_f16 v25, v25, 2.0, -v69
	v_sub_f16_e32 v80, v45, v90
	v_pack_b32_f16 v69, v84, v69
	v_fma_f16 v70, v70, 2.0, -v6
	ds_store_2addr_stride64_b32 v58, v44, v75 offset1:15
	v_lshrrev_b32_e32 v44, 16, v50
	v_pack_b32_f16 v25, v81, v25
	v_fma_f16 v45, v45, 2.0, -v80
	v_sub_f16_e32 v75, v50, v91
	v_pack_b32_f16 v6, v6, v80
	v_sub_f16_e32 v81, v44, v87
	ds_store_2addr_stride64_b32 v57, v25, v69 offset1:15
	v_lshrrev_b32_e32 v25, 16, v76
	v_pack_b32_f16 v45, v70, v45
	v_fma_f16 v50, v50, 2.0, -v75
	v_fma_f16 v44, v44, 2.0, -v81
	v_lshrrev_b32_e32 v69, 16, v78
	v_lshrrev_b32_e32 v70, 16, v79
	;; [unrolled: 1-line block ×3, first 2 shown]
	ds_store_2addr_stride64_b32 v59, v45, v6 offset1:15
	v_lshrrev_b32_e32 v6, 16, v97
	v_sub_f16_e32 v48, v76, v48
	v_sub_f16_e32 v83, v25, v92
	v_lshrrev_b32_e32 v45, 16, v98
	v_pack_b32_f16 v44, v50, v44
	v_lshrrev_b32_e32 v50, 16, v99
	v_pack_b32_f16 v75, v75, v81
	v_lshrrev_b32_e32 v81, 16, v100
	v_sub_f16_e32 v72, v78, v72
	v_fma_f16 v76, v76, 2.0, -v48
	v_fma_f16 v25, v25, 2.0, -v83
	v_sub_f16_e32 v49, v69, v49
	v_sub_f16_e32 v27, v79, v27
	;; [unrolled: 1-line block ×7, first 2 shown]
	s_wait_alu 0xf1ff
	v_cndmask_b32_e64 v89, 0, 0x1e00, s0
	v_sub_f16_e32 v20, v98, v20
	v_sub_f16_e32 v73, v45, v73
	;; [unrolled: 1-line block ×6, first 2 shown]
	v_fma_f16 v78, v78, 2.0, -v72
	v_fma_f16 v69, v69, 2.0, -v49
	;; [unrolled: 1-line block ×8, first 2 shown]
	ds_store_2addr_stride64_b32 v68, v44, v75 offset1:15
	v_add3_u32 v5, 0, v89, v5
	v_pack_b32_f16 v25, v76, v25
	v_pack_b32_f16 v44, v48, v83
	v_fma_f16 v87, v98, 2.0, -v20
	v_fma_f16 v45, v45, 2.0, -v73
	;; [unrolled: 1-line block ×4, first 2 shown]
	v_pack_b32_f16 v27, v27, v82
	v_pack_b32_f16 v51, v51, v74
	v_fma_f16 v90, v100, 2.0, -v47
	v_fma_f16 v81, v81, 2.0, -v77
	v_pack_b32_f16 v48, v78, v69
	v_pack_b32_f16 v69, v79, v70
	ds_store_2addr_stride64_b32 v5, v25, v44 offset1:15
	v_pack_b32_f16 v25, v84, v80
	v_pack_b32_f16 v6, v86, v6
	;; [unrolled: 1-line block ×4, first 2 shown]
	ds_store_2addr_stride64_b32 v53, v27, v51 offset0:48 offset1:50
	v_pack_b32_f16 v27, v87, v45
	v_pack_b32_f16 v44, v88, v50
	;; [unrolled: 1-line block ×6, first 2 shown]
	ds_store_2addr_stride64_b32 v53, v48, v69 offset0:31 offset1:33
	ds_store_2addr_stride64_b32 v53, v25, v6 offset0:35 offset1:37
	;; [unrolled: 1-line block ×6, first 2 shown]
	global_wb scope:SCOPE_SE
	s_wait_dscnt 0x0
	s_barrier_signal -1
	s_barrier_wait -1
	global_inv scope:SCOPE_SE
	s_clause 0x3
	global_load_b32 v25, v[3:4], off offset:7640
	global_load_b32 v71, v[7:8], off offset:7640
	;; [unrolled: 1-line block ×4, first 2 shown]
	v_lshlrev_b64_e32 v[5:6], 2, v[42:43]
	s_clause 0x1
	global_load_b32 v74, v[13:14], off offset:7640
	global_load_b32 v75, v[17:18], off offset:7640
	v_lshlrev_b64_e32 v[19:20], 2, v[38:39]
	v_add_co_u32 v42, s0, s4, v5
	s_wait_alu 0xf1ff
	v_add_co_ci_u32_e64 v43, s0, s5, v6, s0
	v_lshlrev_b64_e32 v[5:6], 2, v[40:41]
	s_clause 0x1
	global_load_b32 v76, v[11:12], off offset:7640
	global_load_b32 v77, v[42:43], off offset:7640
	v_add_co_u32 v40, s0, s4, v5
	s_wait_alu 0xf1ff
	v_add_co_ci_u32_e64 v41, s0, s5, v6, s0
	v_add_co_u32 v38, s0, s4, v19
	v_lshlrev_b64_e32 v[5:6], 2, v[34:35]
	s_wait_alu 0xf1ff
	v_add_co_ci_u32_e64 v39, s0, s5, v20, s0
	s_clause 0x1
	global_load_b32 v78, v[40:41], off offset:7640
	global_load_b32 v79, v[38:39], off offset:7640
	v_lshlrev_b64_e32 v[19:20], 2, v[36:37]
	v_add_co_u32 v36, s0, s4, v5
	s_wait_alu 0xf1ff
	v_add_co_ci_u32_e64 v37, s0, s5, v6, s0
	v_lshlrev_b64_e32 v[5:6], 2, v[32:33]
	s_delay_alu instid0(VALU_DEP_4)
	v_add_co_u32 v34, s0, s4, v19
	s_wait_alu 0xf1ff
	v_add_co_ci_u32_e64 v35, s0, s5, v20, s0
	global_load_b32 v80, v[36:37], off offset:7640
	v_add_co_u32 v32, s0, s4, v5
	global_load_b32 v81, v[34:35], off offset:7640
	s_wait_alu 0xf1ff
	v_add_co_ci_u32_e64 v33, s0, s5, v6, s0
	v_lshlrev_b64_e32 v[5:6], 2, v[30:31]
	global_load_b32 v82, v[32:33], off offset:7640
	v_add_co_u32 v19, s0, s4, v5
	s_wait_alu 0xf1ff
	v_add_co_ci_u32_e64 v20, s0, s5, v6, s0
	v_lshlrev_b64_e32 v[5:6], 2, v[28:29]
	ds_load_2addr_stride64_b32 v[27:28], v53 offset1:30
	global_load_b32 v83, v[19:20], off offset:7640
	v_add_co_u32 v5, s0, s4, v5
	s_wait_alu 0xf1ff
	v_add_co_ci_u32_e64 v6, s0, s5, v6, s0
	v_cmp_ne_u32_e64 s0, 0, v0
	global_load_b32 v84, v[5:6], off offset:7640
	s_wait_dscnt 0x0
	v_lshrrev_b32_e32 v30, 16, v28
	v_lshrrev_b32_e32 v46, 16, v27
	s_wait_loadcnt 0xe
	v_lshrrev_b32_e32 v29, 16, v25
	s_wait_loadcnt 0xd
	;; [unrolled: 2-line block ×3, first 2 shown]
	v_lshrrev_b32_e32 v101, 16, v72
	v_mul_f16_e32 v31, v29, v30
	v_mul_f16_e32 v44, v29, v28
	s_delay_alu instid0(VALU_DEP_2) | instskip(NEXT) | instid1(VALU_DEP_2)
	v_fma_f16 v31, v25, v28, -v31
	v_fmac_f16_e32 v44, v25, v30
	ds_load_2addr_stride64_b32 v[28:29], v53 offset0:32 offset1:34
	ds_load_b32 v25, v60
	ds_load_b32 v85, v61
	v_sub_f16_e32 v47, v27, v31
	v_sub_f16_e32 v48, v46, v44
	ds_load_2addr_stride64_b32 v[30:31], v53 offset0:36 offset1:38
	ds_load_b32 v86, v59
	ds_load_2addr_stride64_b32 v[44:45], v53 offset0:40 offset1:42
	ds_load_b32 v87, v68
	ds_load_b32 v88, v67
	;; [unrolled: 1-line block ×7, first 2 shown]
	v_fma_f16 v27, v27, 2.0, -v47
	v_fma_f16 v46, v46, 2.0, -v48
	v_pack_b32_f16 v94, v47, v48
	s_delay_alu instid0(VALU_DEP_2)
	v_pack_b32_f16 v27, v27, v46
	ds_load_b32 v95, v64
	ds_load_b32 v96, v63
	;; [unrolled: 1-line block ×4, first 2 shown]
	ds_load_2addr_stride64_b32 v[46:47], v53 offset0:44 offset1:46
	ds_load_2addr_stride64_b32 v[48:49], v53 offset0:48 offset1:50
	;; [unrolled: 1-line block ×4, first 2 shown]
	global_wb scope:SCOPE_SE
	s_wait_loadcnt_dscnt 0x0
	s_barrier_signal -1
	v_lshrrev_b32_e32 v100, 16, v28
	v_lshrrev_b32_e32 v102, 16, v29
	v_mul_f16_e32 v103, v99, v28
	s_barrier_wait -1
	global_inv scope:SCOPE_SE
	v_mul_f16_e32 v99, v99, v100
	v_mul_f16_e32 v104, v101, v102
	;; [unrolled: 1-line block ×3, first 2 shown]
	v_fmac_f16_e32 v103, v71, v100
	ds_store_2addr_stride64_b32 v53, v27, v94 offset1:30
	v_fma_f16 v28, v71, v28, -v99
	v_lshrrev_b32_e32 v71, 16, v25
	v_fma_f16 v29, v72, v29, -v104
	v_fmac_f16_e32 v101, v72, v102
	v_lshrrev_b32_e32 v72, 16, v85
	v_sub_f16_e32 v28, v25, v28
	v_sub_f16_e32 v99, v71, v103
	v_sub_f16_e32 v29, v85, v29
	v_lshrrev_b32_e32 v27, 16, v73
	v_sub_f16_e32 v100, v72, v101
	v_fma_f16 v25, v25, 2.0, -v28
	v_fma_f16 v71, v71, 2.0, -v99
	;; [unrolled: 1-line block ×3, first 2 shown]
	v_pack_b32_f16 v28, v28, v99
	v_fma_f16 v72, v72, 2.0, -v100
	v_lshrrev_b32_e32 v94, 16, v31
	v_pack_b32_f16 v25, v25, v71
	v_lshrrev_b32_e32 v99, 16, v74
	v_pack_b32_f16 v29, v29, v100
	v_pack_b32_f16 v71, v85, v72
	v_lshrrev_b32_e32 v72, 16, v30
	v_mul_f16_e32 v85, v30, v27
	ds_store_2addr_stride64_b32 v60, v25, v28 offset1:30
	ds_store_2addr_stride64_b32 v61, v71, v29 offset1:30
	v_lshrrev_b32_e32 v28, 16, v75
	v_mul_f16_e32 v25, v72, v27
	v_mul_f16_e32 v27, v94, v99
	v_lshrrev_b32_e32 v29, 16, v44
	v_lshrrev_b32_e32 v60, 16, v45
	;; [unrolled: 1-line block ×3, first 2 shown]
	v_fma_f16 v25, v30, v73, -v25
	v_mul_f16_e32 v30, v31, v99
	v_fma_f16 v27, v31, v74, -v27
	v_mul_f16_e32 v31, v44, v28
	v_mul_f16_e32 v28, v29, v28
	v_fmac_f16_e32 v85, v72, v73
	v_fmac_f16_e32 v30, v94, v74
	v_lshrrev_b32_e32 v71, 16, v46
	v_fmac_f16_e32 v31, v29, v75
	v_lshrrev_b32_e32 v29, 16, v77
	v_fma_f16 v28, v44, v75, -v28
	v_mul_f16_e32 v44, v60, v61
	v_mul_f16_e32 v61, v45, v61
	v_lshrrev_b32_e32 v73, 16, v47
	v_lshrrev_b32_e32 v74, 16, v78
	v_mul_f16_e32 v72, v46, v29
	v_fma_f16 v44, v45, v76, -v44
	v_fmac_f16_e32 v61, v60, v76
	v_mul_f16_e32 v29, v71, v29
	v_mul_f16_e32 v45, v73, v74
	v_lshrrev_b32_e32 v60, 16, v79
	v_fmac_f16_e32 v72, v71, v77
	v_lshrrev_b32_e32 v71, 16, v48
	v_fma_f16 v29, v46, v77, -v29
	v_mul_f16_e32 v46, v47, v74
	v_fma_f16 v45, v47, v78, -v45
	v_mul_f16_e32 v47, v48, v60
	v_mul_f16_e32 v60, v71, v60
	v_lshrrev_b32_e32 v74, 16, v49
	v_lshrrev_b32_e32 v75, 16, v80
	v_fmac_f16_e32 v46, v73, v78
	v_fmac_f16_e32 v47, v71, v79
	v_lshrrev_b32_e32 v71, 16, v81
	v_fma_f16 v48, v48, v79, -v60
	v_mul_f16_e32 v60, v74, v75
	v_mul_f16_e32 v73, v49, v75
	v_lshrrev_b32_e32 v75, 16, v50
	v_mul_f16_e32 v76, v50, v71
	v_lshrrev_b32_e32 v77, 16, v51
	v_lshrrev_b32_e32 v78, 16, v82
	v_fma_f16 v49, v49, v80, -v60
	v_fmac_f16_e32 v73, v74, v80
	v_mul_f16_e32 v60, v75, v71
	v_fmac_f16_e32 v76, v75, v81
	v_mul_f16_e32 v71, v77, v78
	v_mul_f16_e32 v74, v51, v78
	v_lshrrev_b32_e32 v75, 16, v83
	v_lshrrev_b32_e32 v78, 16, v69
	v_fma_f16 v50, v50, v81, -v60
	v_fma_f16 v51, v51, v82, -v71
	v_fmac_f16_e32 v74, v77, v82
	v_lshrrev_b32_e32 v77, 16, v92
	v_mul_f16_e32 v71, v78, v75
	v_mul_f16_e32 v60, v69, v75
	v_lshrrev_b32_e32 v75, 16, v70
	v_lshrrev_b32_e32 v79, 16, v84
	;; [unrolled: 1-line block ×3, first 2 shown]
	v_fma_f16 v69, v69, v83, -v71
	v_sub_f16_e32 v25, v92, v25
	v_sub_f16_e32 v71, v77, v85
	v_fmac_f16_e32 v60, v78, v83
	v_mul_f16_e32 v78, v75, v79
	v_sub_f16_e32 v27, v91, v27
	v_sub_f16_e32 v30, v80, v30
	v_mul_f16_e32 v79, v70, v79
	v_fma_f16 v81, v92, 2.0, -v25
	v_fma_f16 v77, v77, 2.0, -v71
	v_pack_b32_f16 v25, v25, v71
	v_lshrrev_b32_e32 v71, 16, v86
	v_fma_f16 v70, v70, v84, -v78
	v_fma_f16 v78, v91, 2.0, -v27
	v_fma_f16 v80, v80, 2.0, -v30
	v_fmac_f16_e32 v79, v75, v84
	v_pack_b32_f16 v75, v81, v77
	v_sub_f16_e32 v28, v86, v28
	v_sub_f16_e32 v31, v71, v31
	v_lshrrev_b32_e32 v77, 16, v87
	v_pack_b32_f16 v78, v78, v80
	v_pack_b32_f16 v27, v27, v30
	ds_store_2addr_stride64_b32 v58, v75, v25 offset1:30
	v_lshrrev_b32_e32 v25, 16, v88
	v_lshrrev_b32_e32 v75, 16, v89
	v_fma_f16 v80, v86, 2.0, -v28
	v_fma_f16 v71, v71, 2.0, -v31
	v_lshrrev_b32_e32 v30, 16, v90
	v_lshrrev_b32_e32 v81, 16, v93
	ds_store_2addr_stride64_b32 v57, v78, v27 offset1:30
	v_lshrrev_b32_e32 v27, 16, v95
	v_sub_f16_e32 v44, v87, v44
	v_sub_f16_e32 v61, v77, v61
	v_lshrrev_b32_e32 v78, 16, v96
	v_sub_f16_e32 v29, v88, v29
	v_sub_f16_e32 v72, v25, v72
	v_pack_b32_f16 v71, v80, v71
	v_lshrrev_b32_e32 v80, 16, v97
	v_sub_f16_e32 v45, v89, v45
	v_sub_f16_e32 v46, v75, v46
	v_pack_b32_f16 v28, v28, v31
	v_lshrrev_b32_e32 v31, 16, v98
	v_sub_f16_e32 v48, v90, v48
	v_sub_f16_e32 v47, v30, v47
	;; [unrolled: 1-line block ×4, first 2 shown]
	v_fma_f16 v82, v87, 2.0, -v44
	v_fma_f16 v77, v77, 2.0, -v61
	v_sub_f16_e32 v50, v95, v50
	v_sub_f16_e32 v76, v27, v76
	v_fma_f16 v83, v88, 2.0, -v29
	v_fma_f16 v25, v25, 2.0, -v72
	v_sub_f16_e32 v51, v96, v51
	v_sub_f16_e32 v74, v78, v74
	;; [unrolled: 4-line block ×4, first 2 shown]
	v_fma_f16 v86, v93, 2.0, -v49
	v_fma_f16 v81, v81, 2.0, -v73
	;; [unrolled: 1-line block ×4, first 2 shown]
	v_pack_b32_f16 v77, v82, v77
	v_pack_b32_f16 v44, v44, v61
	v_fma_f16 v88, v96, 2.0, -v51
	v_fma_f16 v78, v78, 2.0, -v74
	v_pack_b32_f16 v25, v83, v25
	v_pack_b32_f16 v29, v29, v72
	v_fma_f16 v89, v97, 2.0, -v69
	v_fma_f16 v80, v80, 2.0, -v60
	;; [unrolled: 4-line block ×3, first 2 shown]
	v_pack_b32_f16 v30, v85, v30
	v_pack_b32_f16 v46, v48, v47
	ds_store_2addr_stride64_b32 v59, v71, v28 offset1:30
	ds_store_2addr_stride64_b32 v68, v77, v44 offset1:30
	;; [unrolled: 1-line block ×5, first 2 shown]
	v_pack_b32_f16 v25, v86, v81
	v_pack_b32_f16 v28, v49, v73
	v_pack_b32_f16 v27, v87, v27
	v_pack_b32_f16 v29, v50, v76
	v_pack_b32_f16 v30, v88, v78
	v_pack_b32_f16 v44, v51, v74
	v_pack_b32_f16 v45, v89, v80
	v_pack_b32_f16 v46, v69, v60
	v_pack_b32_f16 v31, v90, v31
	v_pack_b32_f16 v47, v70, v79
	ds_store_2addr_stride64_b32 v56, v25, v28 offset1:30
	ds_store_2addr_stride64_b32 v64, v27, v29 offset1:30
	;; [unrolled: 1-line block ×5, first 2 shown]
	global_wb scope:SCOPE_SE
	s_wait_dscnt 0x0
	s_barrier_signal -1
	s_barrier_wait -1
	global_inv scope:SCOPE_SE
	ds_load_b32 v30, v53
	v_sub_nc_u32_e32 v25, 0, v52
                                        ; implicit-def: $vgpr29
                                        ; implicit-def: $vgpr28
                                        ; implicit-def: $vgpr27
	s_wait_dscnt 0x0
	v_lshrrev_b32_e32 v31, 16, v30
	s_and_saveexec_b32 s1, s0
	s_wait_alu 0xfffe
	s_xor_b32 s0, exec_lo, s1
	s_cbranch_execz .LBB0_15
; %bb.14:
	global_load_b32 v3, v[3:4], off offset:15320
	ds_load_b32 v4, v25 offset:15360
	s_wait_dscnt 0x0
	v_lshrrev_b32_e32 v27, 16, v4
	v_sub_f16_e32 v28, v30, v4
	v_add_f16_e32 v4, v4, v30
	s_delay_alu instid0(VALU_DEP_3) | instskip(SKIP_1) | instid1(VALU_DEP_4)
	v_add_f16_e32 v29, v27, v31
	v_sub_f16_e32 v27, v31, v27
	v_mul_f16_e32 v31, 0.5, v28
	s_delay_alu instid0(VALU_DEP_3) | instskip(NEXT) | instid1(VALU_DEP_3)
	v_mul_f16_e32 v29, 0.5, v29
	v_mul_f16_e32 v27, 0.5, v27
	s_wait_loadcnt 0x0
	v_lshrrev_b32_e32 v28, 16, v3
	s_delay_alu instid0(VALU_DEP_1) | instskip(NEXT) | instid1(VALU_DEP_3)
	v_mul_f16_e32 v30, v28, v31
	v_fma_f16 v44, v29, v28, v27
	s_delay_alu instid0(VALU_DEP_2) | instskip(SKIP_2) | instid1(VALU_DEP_4)
	v_fma_f16 v45, 0.5, v4, v30
	v_fma_f16 v4, v4, 0.5, -v30
	v_fma_f16 v30, v29, v28, -v27
	v_fma_f16 v27, -v3, v31, v44
	s_delay_alu instid0(VALU_DEP_4) | instskip(NEXT) | instid1(VALU_DEP_4)
	v_fmac_f16_e32 v45, v3, v29
	v_fma_f16 v28, -v3, v29, v4
	s_delay_alu instid0(VALU_DEP_4)
	v_fma_f16 v29, -v3, v31, v30
                                        ; implicit-def: $vgpr31
                                        ; implicit-def: $vgpr30
	ds_store_b16 v53, v45
.LBB0_15:
	s_wait_alu 0xfffe
	s_or_saveexec_b32 s0, s0
	v_mul_i32_i24_e32 v4, 0xffffffdc, v24
	v_mul_i32_i24_e32 v3, 0xffffffdc, v26
	s_wait_alu 0xfffe
	s_xor_b32 exec_lo, exec_lo, s0
	s_cbranch_execz .LBB0_17
; %bb.16:
	v_mov_b32_e32 v27, 0
	v_add_f16_e32 v26, v31, v30
	v_sub_f16_e32 v28, v30, v31
	v_mov_b32_e32 v29, 0
	ds_load_u16 v24, v27 offset:7682
	s_wait_dscnt 0x0
	v_xor_b32_e32 v24, 0x8000, v24
	ds_store_b16 v53, v26
	ds_store_b16 v27, v24 offset:7682
.LBB0_17:
	s_or_b32 exec_lo, exec_lo, s0
	s_clause 0x4
	global_load_b32 v7, v[7:8], off offset:15320
	global_load_b32 v8, v[9:10], off offset:15320
	;; [unrolled: 1-line block ×5, first 2 shown]
	v_perm_b32 v14, v29, v28, 0x5040100
	v_add_nc_u32_e32 v4, v55, v4
	v_add_nc_u32_e32 v3, v54, v3
	ds_store_b16 v53, v27 offset:2
	ds_store_b32 v25, v14 offset:15360
	ds_load_b32 v14, v4
	ds_load_b32 v15, v25 offset:14848
	global_load_b32 v11, v[11:12], off offset:15320
	s_wait_dscnt 0x0
	v_pk_add_f16 v12, v14, v15 neg_lo:[0,1] neg_hi:[0,1]
	v_pk_add_f16 v14, v14, v15
	s_delay_alu instid0(VALU_DEP_1) | instskip(SKIP_1) | instid1(VALU_DEP_2)
	v_bfi_b32 v15, 0xffff, v12, v14
	v_bfi_b32 v12, 0xffff, v14, v12
	v_pk_mul_f16 v14, v15, 0.5 op_sel_hi:[1,0]
	s_clause 0x1
	global_load_b32 v15, v[42:43], off offset:15320
	global_load_b32 v16, v[40:41], off offset:15320
	v_pk_mul_f16 v12, v12, 0.5 op_sel_hi:[1,0]
	s_wait_loadcnt 0x7
	s_delay_alu instid0(VALU_DEP_1) | instskip(SKIP_3) | instid1(VALU_DEP_3)
	v_pk_fma_f16 v17, v7, v14, v12 op_sel:[1,0,0]
	v_pk_mul_f16 v18, v7, v14 op_sel_hi:[0,1]
	v_pk_fma_f16 v24, v7, v14, v12 op_sel:[1,0,0] neg_lo:[1,0,0] neg_hi:[1,0,0]
	v_pk_fma_f16 v7, v7, v14, v12 op_sel:[1,0,0] neg_lo:[0,0,1] neg_hi:[0,0,1]
	v_pk_add_f16 v12, v17, v18 op_sel:[0,1] op_sel_hi:[1,0]
	v_pk_add_f16 v14, v17, v18 op_sel:[0,1] op_sel_hi:[1,0] neg_lo:[0,1] neg_hi:[0,1]
	s_delay_alu instid0(VALU_DEP_4) | instskip(NEXT) | instid1(VALU_DEP_4)
	v_pk_add_f16 v17, v24, v18 op_sel:[0,1] op_sel_hi:[1,0] neg_lo:[0,1] neg_hi:[0,1]
	v_pk_add_f16 v7, v7, v18 op_sel:[0,1] op_sel_hi:[1,0] neg_lo:[0,1] neg_hi:[0,1]
	s_delay_alu instid0(VALU_DEP_3) | instskip(NEXT) | instid1(VALU_DEP_2)
	v_bfi_b32 v12, 0xffff, v12, v14
	v_bfi_b32 v7, 0xffff, v17, v7
	ds_store_b32 v4, v12
	ds_store_b32 v25, v7 offset:14848
	ds_load_b32 v4, v3
	ds_load_b32 v7, v25 offset:14336
	s_wait_dscnt 0x0
	v_pk_add_f16 v12, v4, v7 neg_lo:[0,1] neg_hi:[0,1]
	v_pk_add_f16 v4, v4, v7
	s_delay_alu instid0(VALU_DEP_1) | instskip(SKIP_1) | instid1(VALU_DEP_2)
	v_bfi_b32 v7, 0xffff, v12, v4
	v_bfi_b32 v4, 0xffff, v4, v12
	v_pk_mul_f16 v7, v7, 0.5 op_sel_hi:[1,0]
	s_delay_alu instid0(VALU_DEP_2) | instskip(SKIP_1) | instid1(VALU_DEP_2)
	v_pk_mul_f16 v4, v4, 0.5 op_sel_hi:[1,0]
	s_wait_loadcnt 0x6
	v_pk_mul_f16 v14, v8, v7 op_sel_hi:[0,1]
	s_delay_alu instid0(VALU_DEP_2) | instskip(SKIP_2) | instid1(VALU_DEP_3)
	v_pk_fma_f16 v12, v8, v7, v4 op_sel:[1,0,0]
	v_pk_fma_f16 v17, v8, v7, v4 op_sel:[1,0,0] neg_lo:[1,0,0] neg_hi:[1,0,0]
	v_pk_fma_f16 v4, v8, v7, v4 op_sel:[1,0,0] neg_lo:[0,0,1] neg_hi:[0,0,1]
	v_pk_add_f16 v7, v12, v14 op_sel:[0,1] op_sel_hi:[1,0]
	v_pk_add_f16 v8, v12, v14 op_sel:[0,1] op_sel_hi:[1,0] neg_lo:[0,1] neg_hi:[0,1]
	s_delay_alu instid0(VALU_DEP_4) | instskip(NEXT) | instid1(VALU_DEP_4)
	v_pk_add_f16 v12, v17, v14 op_sel:[0,1] op_sel_hi:[1,0] neg_lo:[0,1] neg_hi:[0,1]
	v_pk_add_f16 v4, v4, v14 op_sel:[0,1] op_sel_hi:[1,0] neg_lo:[0,1] neg_hi:[0,1]
	s_delay_alu instid0(VALU_DEP_3) | instskip(NEXT) | instid1(VALU_DEP_2)
	v_bfi_b32 v7, 0xffff, v7, v8
	v_bfi_b32 v4, 0xffff, v12, v4
	ds_store_b32 v3, v7
	ds_store_b32 v25, v4 offset:14336
	ds_load_b32 v3, v58
	ds_load_b32 v4, v25 offset:13824
	s_wait_dscnt 0x0
	v_pk_add_f16 v7, v3, v4 neg_lo:[0,1] neg_hi:[0,1]
	v_pk_add_f16 v3, v3, v4
	s_delay_alu instid0(VALU_DEP_1) | instskip(SKIP_1) | instid1(VALU_DEP_2)
	v_bfi_b32 v4, 0xffff, v7, v3
	v_bfi_b32 v3, 0xffff, v3, v7
	v_pk_mul_f16 v4, v4, 0.5 op_sel_hi:[1,0]
	s_delay_alu instid0(VALU_DEP_2) | instskip(SKIP_1) | instid1(VALU_DEP_2)
	v_pk_mul_f16 v3, v3, 0.5 op_sel_hi:[1,0]
	s_wait_loadcnt 0x5
	v_pk_mul_f16 v8, v9, v4 op_sel_hi:[0,1]
	s_delay_alu instid0(VALU_DEP_2) | instskip(SKIP_2) | instid1(VALU_DEP_3)
	v_pk_fma_f16 v7, v9, v4, v3 op_sel:[1,0,0]
	v_pk_fma_f16 v12, v9, v4, v3 op_sel:[1,0,0] neg_lo:[1,0,0] neg_hi:[1,0,0]
	v_pk_fma_f16 v3, v9, v4, v3 op_sel:[1,0,0] neg_lo:[0,0,1] neg_hi:[0,0,1]
	v_pk_add_f16 v4, v7, v8 op_sel:[0,1] op_sel_hi:[1,0]
	v_pk_add_f16 v7, v7, v8 op_sel:[0,1] op_sel_hi:[1,0] neg_lo:[0,1] neg_hi:[0,1]
	s_delay_alu instid0(VALU_DEP_4) | instskip(NEXT) | instid1(VALU_DEP_4)
	v_pk_add_f16 v9, v12, v8 op_sel:[0,1] op_sel_hi:[1,0] neg_lo:[0,1] neg_hi:[0,1]
	v_pk_add_f16 v3, v3, v8 op_sel:[0,1] op_sel_hi:[1,0] neg_lo:[0,1] neg_hi:[0,1]
	s_delay_alu instid0(VALU_DEP_3) | instskip(NEXT) | instid1(VALU_DEP_2)
	v_bfi_b32 v4, 0xffff, v4, v7
	v_bfi_b32 v3, 0xffff, v9, v3
	ds_store_b32 v58, v4
	ds_store_b32 v25, v3 offset:13824
	ds_load_b32 v3, v57
	ds_load_b32 v4, v25 offset:13312
	global_load_b32 v7, v[38:39], off offset:15320
	s_wait_dscnt 0x0
	v_pk_add_f16 v8, v3, v4 neg_lo:[0,1] neg_hi:[0,1]
	v_pk_add_f16 v3, v3, v4
	s_delay_alu instid0(VALU_DEP_1) | instskip(SKIP_1) | instid1(VALU_DEP_2)
	v_bfi_b32 v4, 0xffff, v8, v3
	v_bfi_b32 v3, 0xffff, v3, v8
	v_pk_mul_f16 v4, v4, 0.5 op_sel_hi:[1,0]
	s_delay_alu instid0(VALU_DEP_2) | instskip(SKIP_1) | instid1(VALU_DEP_2)
	v_pk_mul_f16 v3, v3, 0.5 op_sel_hi:[1,0]
	s_wait_loadcnt 0x5
	v_pk_mul_f16 v9, v10, v4 op_sel_hi:[0,1]
	s_delay_alu instid0(VALU_DEP_2) | instskip(SKIP_2) | instid1(VALU_DEP_3)
	v_pk_fma_f16 v8, v10, v4, v3 op_sel:[1,0,0]
	v_pk_fma_f16 v12, v10, v4, v3 op_sel:[1,0,0] neg_lo:[1,0,0] neg_hi:[1,0,0]
	v_pk_fma_f16 v3, v10, v4, v3 op_sel:[1,0,0] neg_lo:[0,0,1] neg_hi:[0,0,1]
	v_pk_add_f16 v4, v8, v9 op_sel:[0,1] op_sel_hi:[1,0]
	v_pk_add_f16 v8, v8, v9 op_sel:[0,1] op_sel_hi:[1,0] neg_lo:[0,1] neg_hi:[0,1]
	s_delay_alu instid0(VALU_DEP_4) | instskip(NEXT) | instid1(VALU_DEP_4)
	v_pk_add_f16 v10, v12, v9 op_sel:[0,1] op_sel_hi:[1,0] neg_lo:[0,1] neg_hi:[0,1]
	v_pk_add_f16 v3, v3, v9 op_sel:[0,1] op_sel_hi:[1,0] neg_lo:[0,1] neg_hi:[0,1]
	s_delay_alu instid0(VALU_DEP_3) | instskip(NEXT) | instid1(VALU_DEP_2)
	v_bfi_b32 v4, 0xffff, v4, v8
	v_bfi_b32 v3, 0xffff, v10, v3
	ds_store_b32 v57, v4
	ds_store_b32 v25, v3 offset:13312
	ds_load_b32 v3, v59
	ds_load_b32 v4, v25 offset:12800
	global_load_b32 v8, v[36:37], off offset:15320
	;; [unrolled: 28-line block ×6, first 2 shown]
	s_wait_dscnt 0x0
	v_pk_add_f16 v6, v3, v4 neg_lo:[0,1] neg_hi:[0,1]
	v_pk_add_f16 v3, v3, v4
	s_delay_alu instid0(VALU_DEP_1) | instskip(SKIP_1) | instid1(VALU_DEP_2)
	v_bfi_b32 v4, 0xffff, v6, v3
	v_bfi_b32 v3, 0xffff, v3, v6
	v_pk_mul_f16 v4, v4, 0.5 op_sel_hi:[1,0]
	s_delay_alu instid0(VALU_DEP_2) | instskip(SKIP_1) | instid1(VALU_DEP_1)
	v_pk_mul_f16 v3, v3, 0.5 op_sel_hi:[1,0]
	s_wait_loadcnt 0x5
	v_pk_fma_f16 v6, v7, v4, v3 op_sel:[1,0,0]
	v_pk_mul_f16 v12, v7, v4 op_sel_hi:[0,1]
	v_pk_fma_f16 v13, v7, v4, v3 op_sel:[1,0,0] neg_lo:[1,0,0] neg_hi:[1,0,0]
	v_pk_fma_f16 v3, v7, v4, v3 op_sel:[1,0,0] neg_lo:[0,0,1] neg_hi:[0,0,1]
	s_delay_alu instid0(VALU_DEP_3) | instskip(SKIP_1) | instid1(VALU_DEP_4)
	v_pk_add_f16 v4, v6, v12 op_sel:[0,1] op_sel_hi:[1,0]
	v_pk_add_f16 v6, v6, v12 op_sel:[0,1] op_sel_hi:[1,0] neg_lo:[0,1] neg_hi:[0,1]
	v_pk_add_f16 v7, v13, v12 op_sel:[0,1] op_sel_hi:[1,0] neg_lo:[0,1] neg_hi:[0,1]
	s_delay_alu instid0(VALU_DEP_4) | instskip(NEXT) | instid1(VALU_DEP_3)
	v_pk_add_f16 v3, v3, v12 op_sel:[0,1] op_sel_hi:[1,0] neg_lo:[0,1] neg_hi:[0,1]
	v_bfi_b32 v4, 0xffff, v4, v6
	s_delay_alu instid0(VALU_DEP_2)
	v_bfi_b32 v3, 0xffff, v7, v3
	ds_store_b32 v65, v4
	ds_store_b32 v25, v3 offset:10752
	ds_load_b32 v3, v56
	ds_load_b32 v4, v25 offset:10240
	s_wait_dscnt 0x0
	v_pk_add_f16 v6, v3, v4 neg_lo:[0,1] neg_hi:[0,1]
	v_pk_add_f16 v3, v3, v4
	s_delay_alu instid0(VALU_DEP_1) | instskip(SKIP_1) | instid1(VALU_DEP_2)
	v_bfi_b32 v4, 0xffff, v6, v3
	v_bfi_b32 v3, 0xffff, v3, v6
	v_pk_mul_f16 v4, v4, 0.5 op_sel_hi:[1,0]
	s_delay_alu instid0(VALU_DEP_2) | instskip(SKIP_1) | instid1(VALU_DEP_2)
	v_pk_mul_f16 v3, v3, 0.5 op_sel_hi:[1,0]
	s_wait_loadcnt 0x4
	v_pk_mul_f16 v7, v8, v4 op_sel_hi:[0,1]
	s_delay_alu instid0(VALU_DEP_2) | instskip(SKIP_2) | instid1(VALU_DEP_3)
	v_pk_fma_f16 v6, v8, v4, v3 op_sel:[1,0,0]
	v_pk_fma_f16 v12, v8, v4, v3 op_sel:[1,0,0] neg_lo:[1,0,0] neg_hi:[1,0,0]
	v_pk_fma_f16 v3, v8, v4, v3 op_sel:[1,0,0] neg_lo:[0,0,1] neg_hi:[0,0,1]
	v_pk_add_f16 v4, v6, v7 op_sel:[0,1] op_sel_hi:[1,0]
	v_pk_add_f16 v6, v6, v7 op_sel:[0,1] op_sel_hi:[1,0] neg_lo:[0,1] neg_hi:[0,1]
	s_delay_alu instid0(VALU_DEP_4) | instskip(NEXT) | instid1(VALU_DEP_4)
	v_pk_add_f16 v8, v12, v7 op_sel:[0,1] op_sel_hi:[1,0] neg_lo:[0,1] neg_hi:[0,1]
	v_pk_add_f16 v3, v3, v7 op_sel:[0,1] op_sel_hi:[1,0] neg_lo:[0,1] neg_hi:[0,1]
	s_delay_alu instid0(VALU_DEP_3) | instskip(NEXT) | instid1(VALU_DEP_2)
	v_bfi_b32 v4, 0xffff, v4, v6
	v_bfi_b32 v3, 0xffff, v8, v3
	ds_store_b32 v56, v4
	ds_store_b32 v25, v3 offset:10240
	ds_load_b32 v3, v64
	ds_load_b32 v4, v25 offset:9728
	s_wait_dscnt 0x0
	v_pk_add_f16 v6, v3, v4 neg_lo:[0,1] neg_hi:[0,1]
	v_pk_add_f16 v3, v3, v4
	s_delay_alu instid0(VALU_DEP_1) | instskip(SKIP_1) | instid1(VALU_DEP_2)
	v_bfi_b32 v4, 0xffff, v6, v3
	v_bfi_b32 v3, 0xffff, v3, v6
	v_pk_mul_f16 v4, v4, 0.5 op_sel_hi:[1,0]
	s_delay_alu instid0(VALU_DEP_2) | instskip(SKIP_1) | instid1(VALU_DEP_2)
	v_pk_mul_f16 v3, v3, 0.5 op_sel_hi:[1,0]
	s_wait_loadcnt 0x3
	v_pk_mul_f16 v7, v9, v4 op_sel_hi:[0,1]
	s_delay_alu instid0(VALU_DEP_2) | instskip(SKIP_2) | instid1(VALU_DEP_3)
	v_pk_fma_f16 v6, v9, v4, v3 op_sel:[1,0,0]
	v_pk_fma_f16 v8, v9, v4, v3 op_sel:[1,0,0] neg_lo:[1,0,0] neg_hi:[1,0,0]
	v_pk_fma_f16 v3, v9, v4, v3 op_sel:[1,0,0] neg_lo:[0,0,1] neg_hi:[0,0,1]
	v_pk_add_f16 v4, v6, v7 op_sel:[0,1] op_sel_hi:[1,0]
	v_pk_add_f16 v6, v6, v7 op_sel:[0,1] op_sel_hi:[1,0] neg_lo:[0,1] neg_hi:[0,1]
	s_delay_alu instid0(VALU_DEP_4) | instskip(NEXT) | instid1(VALU_DEP_4)
	v_pk_add_f16 v8, v8, v7 op_sel:[0,1] op_sel_hi:[1,0] neg_lo:[0,1] neg_hi:[0,1]
	v_pk_add_f16 v3, v3, v7 op_sel:[0,1] op_sel_hi:[1,0] neg_lo:[0,1] neg_hi:[0,1]
	s_delay_alu instid0(VALU_DEP_3) | instskip(NEXT) | instid1(VALU_DEP_2)
	v_bfi_b32 v4, 0xffff, v4, v6
	v_bfi_b32 v3, 0xffff, v8, v3
	ds_store_b32 v64, v4
	ds_store_b32 v25, v3 offset:9728
	ds_load_b32 v3, v63
	ds_load_b32 v4, v25 offset:9216
	s_wait_dscnt 0x0
	v_pk_add_f16 v6, v3, v4 neg_lo:[0,1] neg_hi:[0,1]
	v_pk_add_f16 v3, v3, v4
	s_delay_alu instid0(VALU_DEP_1) | instskip(SKIP_1) | instid1(VALU_DEP_2)
	v_bfi_b32 v4, 0xffff, v6, v3
	v_bfi_b32 v3, 0xffff, v3, v6
	v_pk_mul_f16 v4, v4, 0.5 op_sel_hi:[1,0]
	s_delay_alu instid0(VALU_DEP_2) | instskip(SKIP_1) | instid1(VALU_DEP_2)
	v_pk_mul_f16 v3, v3, 0.5 op_sel_hi:[1,0]
	s_wait_loadcnt 0x2
	v_pk_mul_f16 v7, v10, v4 op_sel_hi:[0,1]
	s_delay_alu instid0(VALU_DEP_2) | instskip(SKIP_2) | instid1(VALU_DEP_3)
	v_pk_fma_f16 v6, v10, v4, v3 op_sel:[1,0,0]
	v_pk_fma_f16 v8, v10, v4, v3 op_sel:[1,0,0] neg_lo:[1,0,0] neg_hi:[1,0,0]
	v_pk_fma_f16 v3, v10, v4, v3 op_sel:[1,0,0] neg_lo:[0,0,1] neg_hi:[0,0,1]
	v_pk_add_f16 v4, v6, v7 op_sel:[0,1] op_sel_hi:[1,0]
	v_pk_add_f16 v6, v6, v7 op_sel:[0,1] op_sel_hi:[1,0] neg_lo:[0,1] neg_hi:[0,1]
	s_delay_alu instid0(VALU_DEP_4) | instskip(NEXT) | instid1(VALU_DEP_4)
	v_pk_add_f16 v8, v8, v7 op_sel:[0,1] op_sel_hi:[1,0] neg_lo:[0,1] neg_hi:[0,1]
	v_pk_add_f16 v3, v3, v7 op_sel:[0,1] op_sel_hi:[1,0] neg_lo:[0,1] neg_hi:[0,1]
	s_delay_alu instid0(VALU_DEP_3) | instskip(NEXT) | instid1(VALU_DEP_2)
	v_bfi_b32 v4, 0xffff, v4, v6
	v_bfi_b32 v3, 0xffff, v8, v3
	ds_store_b32 v63, v4
	ds_store_b32 v25, v3 offset:9216
	ds_load_b32 v3, v62
	ds_load_b32 v4, v25 offset:8704
	s_wait_dscnt 0x0
	v_pk_add_f16 v6, v3, v4 neg_lo:[0,1] neg_hi:[0,1]
	v_pk_add_f16 v3, v3, v4
	s_delay_alu instid0(VALU_DEP_1) | instskip(SKIP_1) | instid1(VALU_DEP_2)
	v_bfi_b32 v4, 0xffff, v6, v3
	v_bfi_b32 v3, 0xffff, v3, v6
	v_pk_mul_f16 v4, v4, 0.5 op_sel_hi:[1,0]
	s_delay_alu instid0(VALU_DEP_2) | instskip(SKIP_1) | instid1(VALU_DEP_2)
	v_pk_mul_f16 v3, v3, 0.5 op_sel_hi:[1,0]
	s_wait_loadcnt 0x1
	v_pk_mul_f16 v7, v11, v4 op_sel_hi:[0,1]
	s_delay_alu instid0(VALU_DEP_2) | instskip(SKIP_2) | instid1(VALU_DEP_3)
	v_pk_fma_f16 v6, v11, v4, v3 op_sel:[1,0,0]
	v_pk_fma_f16 v8, v11, v4, v3 op_sel:[1,0,0] neg_lo:[1,0,0] neg_hi:[1,0,0]
	v_pk_fma_f16 v3, v11, v4, v3 op_sel:[1,0,0] neg_lo:[0,0,1] neg_hi:[0,0,1]
	v_pk_add_f16 v4, v6, v7 op_sel:[0,1] op_sel_hi:[1,0]
	v_pk_add_f16 v6, v6, v7 op_sel:[0,1] op_sel_hi:[1,0] neg_lo:[0,1] neg_hi:[0,1]
	s_delay_alu instid0(VALU_DEP_4) | instskip(NEXT) | instid1(VALU_DEP_4)
	v_pk_add_f16 v8, v8, v7 op_sel:[0,1] op_sel_hi:[1,0] neg_lo:[0,1] neg_hi:[0,1]
	v_pk_add_f16 v3, v3, v7 op_sel:[0,1] op_sel_hi:[1,0] neg_lo:[0,1] neg_hi:[0,1]
	s_delay_alu instid0(VALU_DEP_3) | instskip(NEXT) | instid1(VALU_DEP_2)
	v_bfi_b32 v4, 0xffff, v4, v6
	v_bfi_b32 v3, 0xffff, v8, v3
	ds_store_b32 v62, v4
	ds_store_b32 v25, v3 offset:8704
	ds_load_b32 v3, v21
	ds_load_b32 v4, v25 offset:8192
	s_wait_dscnt 0x0
	v_pk_add_f16 v6, v3, v4 neg_lo:[0,1] neg_hi:[0,1]
	v_pk_add_f16 v3, v3, v4
	s_delay_alu instid0(VALU_DEP_1) | instskip(SKIP_1) | instid1(VALU_DEP_2)
	v_bfi_b32 v4, 0xffff, v6, v3
	v_bfi_b32 v3, 0xffff, v3, v6
	v_pk_mul_f16 v4, v4, 0.5 op_sel_hi:[1,0]
	s_delay_alu instid0(VALU_DEP_2) | instskip(SKIP_1) | instid1(VALU_DEP_2)
	v_pk_mul_f16 v3, v3, 0.5 op_sel_hi:[1,0]
	s_wait_loadcnt 0x0
	v_pk_mul_f16 v7, v5, v4 op_sel_hi:[0,1]
	s_delay_alu instid0(VALU_DEP_2) | instskip(SKIP_2) | instid1(VALU_DEP_3)
	v_pk_fma_f16 v6, v5, v4, v3 op_sel:[1,0,0]
	v_pk_fma_f16 v8, v5, v4, v3 op_sel:[1,0,0] neg_lo:[1,0,0] neg_hi:[1,0,0]
	v_pk_fma_f16 v3, v5, v4, v3 op_sel:[1,0,0] neg_lo:[0,0,1] neg_hi:[0,0,1]
	v_pk_add_f16 v4, v6, v7 op_sel:[0,1] op_sel_hi:[1,0]
	v_pk_add_f16 v5, v6, v7 op_sel:[0,1] op_sel_hi:[1,0] neg_lo:[0,1] neg_hi:[0,1]
	s_delay_alu instid0(VALU_DEP_4) | instskip(NEXT) | instid1(VALU_DEP_4)
	v_pk_add_f16 v6, v8, v7 op_sel:[0,1] op_sel_hi:[1,0] neg_lo:[0,1] neg_hi:[0,1]
	v_pk_add_f16 v3, v3, v7 op_sel:[0,1] op_sel_hi:[1,0] neg_lo:[0,1] neg_hi:[0,1]
	s_delay_alu instid0(VALU_DEP_3) | instskip(NEXT) | instid1(VALU_DEP_2)
	v_bfi_b32 v4, 0xffff, v4, v5
	v_bfi_b32 v3, 0xffff, v6, v3
	ds_store_b32 v21, v4
	ds_store_b32 v25, v3 offset:8192
	global_wb scope:SCOPE_SE
	s_wait_dscnt 0x0
	s_barrier_signal -1
	s_barrier_wait -1
	global_inv scope:SCOPE_SE
	s_and_saveexec_b32 s0, vcc_lo
	s_cbranch_execz .LBB0_20
; %bb.18:
	v_or_b32_e32 v13, 0xe00, v52
	ds_load_2addr_stride64_b32 v[5:6], v53 offset1:2
	ds_load_2addr_stride64_b32 v[7:8], v53 offset0:4 offset1:6
	ds_load_2addr_stride64_b32 v[9:10], v53 offset0:8 offset1:10
	ds_load_2addr_stride64_b32 v[11:12], v53 offset0:12 offset1:16
	v_add_co_u32 v3, vcc_lo, s8, v22
	s_wait_alu 0xfffd
	v_add_co_ci_u32_e32 v4, vcc_lo, s9, v23, vcc_lo
	v_add_nc_u32_e32 v14, 0, v13
	s_delay_alu instid0(VALU_DEP_3) | instskip(SKIP_1) | instid1(VALU_DEP_3)
	v_add_co_u32 v1, vcc_lo, v3, v1
	s_wait_alu 0xfffd
	v_add_co_ci_u32_e32 v2, vcc_lo, v4, v2, vcc_lo
	ds_load_b32 v15, v14
	v_or_b32_e32 v17, 0x1e00, v52
	v_or_b32_e32 v27, 0x2e00, v52
	s_wait_dscnt 0x4
	s_clause 0x1
	global_store_b32 v[1:2], v5, off
	global_store_b32 v[1:2], v6, off offset:512
	s_wait_dscnt 0x3
	s_clause 0x1
	global_store_b32 v[1:2], v7, off offset:1024
	global_store_b32 v[1:2], v8, off offset:1536
	s_wait_dscnt 0x2
	s_clause 0x1
	global_store_b32 v[1:2], v9, off offset:2048
	global_store_b32 v[1:2], v10, off offset:2560
	s_wait_dscnt 0x1
	global_store_b32 v[1:2], v11, off offset:3072
	v_add_nc_u32_e32 v11, 0, v17
	v_add_nc_u32_e32 v16, 0, v27
	ds_load_2addr_stride64_b32 v[5:6], v53 offset0:18 offset1:20
	ds_load_2addr_stride64_b32 v[7:8], v53 offset0:22 offset1:24
	v_add_co_u32 v9, vcc_lo, v3, v13
	s_wait_alu 0xfffd
	v_add_co_ci_u32_e32 v10, vcc_lo, 0, v4, vcc_lo
	ds_load_2addr_stride64_b32 v[13:14], v53 offset0:26 offset1:28
	ds_load_b32 v11, v11
	ds_load_b32 v28, v16
	ds_load_b32 v29, v53 offset:14848
	v_add_co_u32 v17, vcc_lo, v3, v17
	s_wait_dscnt 0x6
	global_store_b32 v[9:10], v15, off
	ds_load_2addr_stride64_b32 v[9:10], v53 offset0:32 offset1:34
	ds_load_2addr_stride64_b32 v[15:16], v53 offset0:36 offset1:38
	;; [unrolled: 1-line block ×6, first 2 shown]
	s_wait_alu 0xfffd
	v_add_co_ci_u32_e32 v18, vcc_lo, 0, v4, vcc_lo
	global_store_b32 v[1:2], v12, off offset:4096
	s_wait_dscnt 0xb
	s_clause 0x1
	global_store_b32 v[1:2], v5, off offset:4608
	global_store_b32 v[1:2], v6, off offset:5120
	s_wait_dscnt 0xa
	s_clause 0x1
	global_store_b32 v[1:2], v7, off offset:5632
	;; [unrolled: 4-line block ×3, first 2 shown]
	global_store_b32 v[1:2], v14, off offset:7168
	s_wait_dscnt 0x8
	global_store_b32 v[17:18], v11, off
	v_add_co_u32 v5, vcc_lo, v3, v27
	s_wait_alu 0xfffd
	v_add_co_ci_u32_e32 v6, vcc_lo, 0, v4, vcc_lo
	v_cmp_eq_u32_e32 vcc_lo, 0x7f, v0
	s_wait_dscnt 0x5
	s_clause 0x1
	global_store_b32 v[1:2], v9, off offset:8192
	global_store_b32 v[1:2], v10, off offset:8704
	s_wait_dscnt 0x4
	s_clause 0x1
	global_store_b32 v[1:2], v15, off offset:9216
	global_store_b32 v[1:2], v16, off offset:9728
	;; [unrolled: 4-line block ×3, first 2 shown]
	s_wait_dscnt 0x2
	s_clause 0x2
	global_store_b32 v[1:2], v21, off offset:11264
	global_store_b32 v[5:6], v28, off
	global_store_b32 v[1:2], v22, off offset:12288
	s_wait_dscnt 0x1
	s_clause 0x1
	global_store_b32 v[1:2], v23, off offset:12800
	global_store_b32 v[1:2], v24, off offset:13312
	s_wait_dscnt 0x0
	s_clause 0x2
	global_store_b32 v[1:2], v25, off offset:13824
	global_store_b32 v[1:2], v26, off offset:14336
	;; [unrolled: 1-line block ×3, first 2 shown]
	s_and_b32 exec_lo, exec_lo, vcc_lo
	s_cbranch_execz .LBB0_20
; %bb.19:
	v_mov_b32_e32 v0, 0
	ds_load_b32 v0, v0 offset:15360
	s_wait_dscnt 0x0
	global_store_b32 v[3:4], v0, off offset:15360
.LBB0_20:
	s_nop 0
	s_sendmsg sendmsg(MSG_DEALLOC_VGPRS)
	s_endpgm
	.section	.rodata,"a",@progbits
	.p2align	6, 0x0
	.amdhsa_kernel fft_rtc_fwd_len3840_factors_10_6_2_2_2_2_2_2_wgs_128_tpt_128_halfLds_half_ip_CI_unitstride_sbrr_R2C_dirReg
		.amdhsa_group_segment_fixed_size 0
		.amdhsa_private_segment_fixed_size 0
		.amdhsa_kernarg_size 88
		.amdhsa_user_sgpr_count 2
		.amdhsa_user_sgpr_dispatch_ptr 0
		.amdhsa_user_sgpr_queue_ptr 0
		.amdhsa_user_sgpr_kernarg_segment_ptr 1
		.amdhsa_user_sgpr_dispatch_id 0
		.amdhsa_user_sgpr_private_segment_size 0
		.amdhsa_wavefront_size32 1
		.amdhsa_uses_dynamic_stack 0
		.amdhsa_enable_private_segment 0
		.amdhsa_system_sgpr_workgroup_id_x 1
		.amdhsa_system_sgpr_workgroup_id_y 0
		.amdhsa_system_sgpr_workgroup_id_z 0
		.amdhsa_system_sgpr_workgroup_info 0
		.amdhsa_system_vgpr_workitem_id 0
		.amdhsa_next_free_vgpr 137
		.amdhsa_next_free_sgpr 32
		.amdhsa_reserve_vcc 1
		.amdhsa_float_round_mode_32 0
		.amdhsa_float_round_mode_16_64 0
		.amdhsa_float_denorm_mode_32 3
		.amdhsa_float_denorm_mode_16_64 3
		.amdhsa_fp16_overflow 0
		.amdhsa_workgroup_processor_mode 1
		.amdhsa_memory_ordered 1
		.amdhsa_forward_progress 0
		.amdhsa_round_robin_scheduling 0
		.amdhsa_exception_fp_ieee_invalid_op 0
		.amdhsa_exception_fp_denorm_src 0
		.amdhsa_exception_fp_ieee_div_zero 0
		.amdhsa_exception_fp_ieee_overflow 0
		.amdhsa_exception_fp_ieee_underflow 0
		.amdhsa_exception_fp_ieee_inexact 0
		.amdhsa_exception_int_div_zero 0
	.end_amdhsa_kernel
	.text
.Lfunc_end0:
	.size	fft_rtc_fwd_len3840_factors_10_6_2_2_2_2_2_2_wgs_128_tpt_128_halfLds_half_ip_CI_unitstride_sbrr_R2C_dirReg, .Lfunc_end0-fft_rtc_fwd_len3840_factors_10_6_2_2_2_2_2_2_wgs_128_tpt_128_halfLds_half_ip_CI_unitstride_sbrr_R2C_dirReg
                                        ; -- End function
	.section	.AMDGPU.csdata,"",@progbits
; Kernel info:
; codeLenInByte = 26308
; NumSgprs: 34
; NumVgprs: 137
; ScratchSize: 0
; MemoryBound: 0
; FloatMode: 240
; IeeeMode: 1
; LDSByteSize: 0 bytes/workgroup (compile time only)
; SGPRBlocks: 4
; VGPRBlocks: 17
; NumSGPRsForWavesPerEU: 34
; NumVGPRsForWavesPerEU: 137
; Occupancy: 10
; WaveLimiterHint : 1
; COMPUTE_PGM_RSRC2:SCRATCH_EN: 0
; COMPUTE_PGM_RSRC2:USER_SGPR: 2
; COMPUTE_PGM_RSRC2:TRAP_HANDLER: 0
; COMPUTE_PGM_RSRC2:TGID_X_EN: 1
; COMPUTE_PGM_RSRC2:TGID_Y_EN: 0
; COMPUTE_PGM_RSRC2:TGID_Z_EN: 0
; COMPUTE_PGM_RSRC2:TIDIG_COMP_CNT: 0
	.text
	.p2alignl 7, 3214868480
	.fill 96, 4, 3214868480
	.type	__hip_cuid_642319d2a0a1d824,@object ; @__hip_cuid_642319d2a0a1d824
	.section	.bss,"aw",@nobits
	.globl	__hip_cuid_642319d2a0a1d824
__hip_cuid_642319d2a0a1d824:
	.byte	0                               ; 0x0
	.size	__hip_cuid_642319d2a0a1d824, 1

	.ident	"AMD clang version 19.0.0git (https://github.com/RadeonOpenCompute/llvm-project roc-6.4.0 25133 c7fe45cf4b819c5991fe208aaa96edf142730f1d)"
	.section	".note.GNU-stack","",@progbits
	.addrsig
	.addrsig_sym __hip_cuid_642319d2a0a1d824
	.amdgpu_metadata
---
amdhsa.kernels:
  - .args:
      - .actual_access:  read_only
        .address_space:  global
        .offset:         0
        .size:           8
        .value_kind:     global_buffer
      - .offset:         8
        .size:           8
        .value_kind:     by_value
      - .actual_access:  read_only
        .address_space:  global
        .offset:         16
        .size:           8
        .value_kind:     global_buffer
      - .actual_access:  read_only
        .address_space:  global
        .offset:         24
        .size:           8
        .value_kind:     global_buffer
      - .offset:         32
        .size:           8
        .value_kind:     by_value
      - .actual_access:  read_only
        .address_space:  global
        .offset:         40
        .size:           8
        .value_kind:     global_buffer
      - .actual_access:  read_only
        .address_space:  global
        .offset:         48
        .size:           8
        .value_kind:     global_buffer
      - .offset:         56
        .size:           4
        .value_kind:     by_value
      - .actual_access:  read_only
        .address_space:  global
        .offset:         64
        .size:           8
        .value_kind:     global_buffer
      - .actual_access:  read_only
        .address_space:  global
        .offset:         72
        .size:           8
        .value_kind:     global_buffer
      - .address_space:  global
        .offset:         80
        .size:           8
        .value_kind:     global_buffer
    .group_segment_fixed_size: 0
    .kernarg_segment_align: 8
    .kernarg_segment_size: 88
    .language:       OpenCL C
    .language_version:
      - 2
      - 0
    .max_flat_workgroup_size: 128
    .name:           fft_rtc_fwd_len3840_factors_10_6_2_2_2_2_2_2_wgs_128_tpt_128_halfLds_half_ip_CI_unitstride_sbrr_R2C_dirReg
    .private_segment_fixed_size: 0
    .sgpr_count:     34
    .sgpr_spill_count: 0
    .symbol:         fft_rtc_fwd_len3840_factors_10_6_2_2_2_2_2_2_wgs_128_tpt_128_halfLds_half_ip_CI_unitstride_sbrr_R2C_dirReg.kd
    .uniform_work_group_size: 1
    .uses_dynamic_stack: false
    .vgpr_count:     137
    .vgpr_spill_count: 0
    .wavefront_size: 32
    .workgroup_processor_mode: 1
amdhsa.target:   amdgcn-amd-amdhsa--gfx1201
amdhsa.version:
  - 1
  - 2
...

	.end_amdgpu_metadata
